;; amdgpu-corpus repo=ROCm/rocFFT kind=compiled arch=gfx1030 opt=O3
	.text
	.amdgcn_target "amdgcn-amd-amdhsa--gfx1030"
	.amdhsa_code_object_version 6
	.protected	fft_rtc_fwd_len867_factors_17_17_3_wgs_51_tpt_51_halfLds_sp_ip_CI_unitstride_sbrr_dirReg ; -- Begin function fft_rtc_fwd_len867_factors_17_17_3_wgs_51_tpt_51_halfLds_sp_ip_CI_unitstride_sbrr_dirReg
	.globl	fft_rtc_fwd_len867_factors_17_17_3_wgs_51_tpt_51_halfLds_sp_ip_CI_unitstride_sbrr_dirReg
	.p2align	8
	.type	fft_rtc_fwd_len867_factors_17_17_3_wgs_51_tpt_51_halfLds_sp_ip_CI_unitstride_sbrr_dirReg,@function
fft_rtc_fwd_len867_factors_17_17_3_wgs_51_tpt_51_halfLds_sp_ip_CI_unitstride_sbrr_dirReg: ; @fft_rtc_fwd_len867_factors_17_17_3_wgs_51_tpt_51_halfLds_sp_ip_CI_unitstride_sbrr_dirReg
; %bb.0:
	s_clause 0x2
	s_load_dwordx4 s[8:11], s[4:5], 0x0
	s_load_dwordx2 s[2:3], s[4:5], 0x50
	s_load_dwordx2 s[12:13], s[4:5], 0x18
	v_mul_u32_u24_e32 v1, 0x506, v0
	v_mov_b32_e32 v3, 0
	v_add_nc_u32_sdwa v5, s6, v1 dst_sel:DWORD dst_unused:UNUSED_PAD src0_sel:DWORD src1_sel:WORD_1
	v_mov_b32_e32 v1, 0
	v_mov_b32_e32 v6, v3
	v_mov_b32_e32 v2, 0
	s_waitcnt lgkmcnt(0)
	v_cmp_lt_u64_e64 s0, s[10:11], 2
	s_and_b32 vcc_lo, exec_lo, s0
	s_cbranch_vccnz .LBB0_8
; %bb.1:
	s_load_dwordx2 s[0:1], s[4:5], 0x10
	v_mov_b32_e32 v1, 0
	s_add_u32 s6, s12, 8
	v_mov_b32_e32 v2, 0
	s_addc_u32 s7, s13, 0
	s_mov_b64 s[16:17], 1
	s_waitcnt lgkmcnt(0)
	s_add_u32 s14, s0, 8
	s_addc_u32 s15, s1, 0
.LBB0_2:                                ; =>This Inner Loop Header: Depth=1
	s_load_dwordx2 s[18:19], s[14:15], 0x0
                                        ; implicit-def: $vgpr7_vgpr8
	s_mov_b32 s0, exec_lo
	s_waitcnt lgkmcnt(0)
	v_or_b32_e32 v4, s19, v6
	v_cmpx_ne_u64_e32 0, v[3:4]
	s_xor_b32 s1, exec_lo, s0
	s_cbranch_execz .LBB0_4
; %bb.3:                                ;   in Loop: Header=BB0_2 Depth=1
	v_cvt_f32_u32_e32 v4, s18
	v_cvt_f32_u32_e32 v7, s19
	s_sub_u32 s0, 0, s18
	s_subb_u32 s20, 0, s19
	v_fmac_f32_e32 v4, 0x4f800000, v7
	v_rcp_f32_e32 v4, v4
	v_mul_f32_e32 v4, 0x5f7ffffc, v4
	v_mul_f32_e32 v7, 0x2f800000, v4
	v_trunc_f32_e32 v7, v7
	v_fmac_f32_e32 v4, 0xcf800000, v7
	v_cvt_u32_f32_e32 v7, v7
	v_cvt_u32_f32_e32 v4, v4
	v_mul_lo_u32 v8, s0, v7
	v_mul_hi_u32 v9, s0, v4
	v_mul_lo_u32 v10, s20, v4
	v_add_nc_u32_e32 v8, v9, v8
	v_mul_lo_u32 v9, s0, v4
	v_add_nc_u32_e32 v8, v8, v10
	v_mul_hi_u32 v10, v4, v9
	v_mul_lo_u32 v11, v4, v8
	v_mul_hi_u32 v12, v4, v8
	v_mul_hi_u32 v13, v7, v9
	v_mul_lo_u32 v9, v7, v9
	v_mul_hi_u32 v14, v7, v8
	v_mul_lo_u32 v8, v7, v8
	v_add_co_u32 v10, vcc_lo, v10, v11
	v_add_co_ci_u32_e32 v11, vcc_lo, 0, v12, vcc_lo
	v_add_co_u32 v9, vcc_lo, v10, v9
	v_add_co_ci_u32_e32 v9, vcc_lo, v11, v13, vcc_lo
	v_add_co_ci_u32_e32 v10, vcc_lo, 0, v14, vcc_lo
	v_add_co_u32 v8, vcc_lo, v9, v8
	v_add_co_ci_u32_e32 v9, vcc_lo, 0, v10, vcc_lo
	v_add_co_u32 v4, vcc_lo, v4, v8
	v_add_co_ci_u32_e32 v7, vcc_lo, v7, v9, vcc_lo
	v_mul_hi_u32 v8, s0, v4
	v_mul_lo_u32 v10, s20, v4
	v_mul_lo_u32 v9, s0, v7
	v_add_nc_u32_e32 v8, v8, v9
	v_mul_lo_u32 v9, s0, v4
	v_add_nc_u32_e32 v8, v8, v10
	v_mul_hi_u32 v10, v4, v9
	v_mul_lo_u32 v11, v4, v8
	v_mul_hi_u32 v12, v4, v8
	v_mul_hi_u32 v13, v7, v9
	v_mul_lo_u32 v9, v7, v9
	v_mul_hi_u32 v14, v7, v8
	v_mul_lo_u32 v8, v7, v8
	v_add_co_u32 v10, vcc_lo, v10, v11
	v_add_co_ci_u32_e32 v11, vcc_lo, 0, v12, vcc_lo
	v_add_co_u32 v9, vcc_lo, v10, v9
	v_add_co_ci_u32_e32 v9, vcc_lo, v11, v13, vcc_lo
	v_add_co_ci_u32_e32 v10, vcc_lo, 0, v14, vcc_lo
	v_add_co_u32 v8, vcc_lo, v9, v8
	v_add_co_ci_u32_e32 v9, vcc_lo, 0, v10, vcc_lo
	v_add_co_u32 v4, vcc_lo, v4, v8
	v_add_co_ci_u32_e32 v11, vcc_lo, v7, v9, vcc_lo
	v_mul_hi_u32 v13, v5, v4
	v_mad_u64_u32 v[9:10], null, v6, v4, 0
	v_mad_u64_u32 v[7:8], null, v5, v11, 0
	;; [unrolled: 1-line block ×3, first 2 shown]
	v_add_co_u32 v4, vcc_lo, v13, v7
	v_add_co_ci_u32_e32 v7, vcc_lo, 0, v8, vcc_lo
	v_add_co_u32 v4, vcc_lo, v4, v9
	v_add_co_ci_u32_e32 v4, vcc_lo, v7, v10, vcc_lo
	v_add_co_ci_u32_e32 v7, vcc_lo, 0, v12, vcc_lo
	v_add_co_u32 v4, vcc_lo, v4, v11
	v_add_co_ci_u32_e32 v9, vcc_lo, 0, v7, vcc_lo
	v_mul_lo_u32 v10, s19, v4
	v_mad_u64_u32 v[7:8], null, s18, v4, 0
	v_mul_lo_u32 v11, s18, v9
	v_sub_co_u32 v7, vcc_lo, v5, v7
	v_add3_u32 v8, v8, v11, v10
	v_sub_nc_u32_e32 v10, v6, v8
	v_subrev_co_ci_u32_e64 v10, s0, s19, v10, vcc_lo
	v_add_co_u32 v11, s0, v4, 2
	v_add_co_ci_u32_e64 v12, s0, 0, v9, s0
	v_sub_co_u32 v13, s0, v7, s18
	v_sub_co_ci_u32_e32 v8, vcc_lo, v6, v8, vcc_lo
	v_subrev_co_ci_u32_e64 v10, s0, 0, v10, s0
	v_cmp_le_u32_e32 vcc_lo, s18, v13
	v_cmp_eq_u32_e64 s0, s19, v8
	v_cndmask_b32_e64 v13, 0, -1, vcc_lo
	v_cmp_le_u32_e32 vcc_lo, s19, v10
	v_cndmask_b32_e64 v14, 0, -1, vcc_lo
	v_cmp_le_u32_e32 vcc_lo, s18, v7
	;; [unrolled: 2-line block ×3, first 2 shown]
	v_cndmask_b32_e64 v15, 0, -1, vcc_lo
	v_cmp_eq_u32_e32 vcc_lo, s19, v10
	v_cndmask_b32_e64 v7, v15, v7, s0
	v_cndmask_b32_e32 v10, v14, v13, vcc_lo
	v_add_co_u32 v13, vcc_lo, v4, 1
	v_add_co_ci_u32_e32 v14, vcc_lo, 0, v9, vcc_lo
	v_cmp_ne_u32_e32 vcc_lo, 0, v10
	v_cndmask_b32_e32 v8, v14, v12, vcc_lo
	v_cndmask_b32_e32 v10, v13, v11, vcc_lo
	v_cmp_ne_u32_e32 vcc_lo, 0, v7
	v_cndmask_b32_e32 v8, v9, v8, vcc_lo
	v_cndmask_b32_e32 v7, v4, v10, vcc_lo
.LBB0_4:                                ;   in Loop: Header=BB0_2 Depth=1
	s_andn2_saveexec_b32 s0, s1
	s_cbranch_execz .LBB0_6
; %bb.5:                                ;   in Loop: Header=BB0_2 Depth=1
	v_cvt_f32_u32_e32 v4, s18
	s_sub_i32 s1, 0, s18
	v_rcp_iflag_f32_e32 v4, v4
	v_mul_f32_e32 v4, 0x4f7ffffe, v4
	v_cvt_u32_f32_e32 v4, v4
	v_mul_lo_u32 v7, s1, v4
	v_mul_hi_u32 v7, v4, v7
	v_add_nc_u32_e32 v4, v4, v7
	v_mul_hi_u32 v4, v5, v4
	v_mul_lo_u32 v7, v4, s18
	v_add_nc_u32_e32 v8, 1, v4
	v_sub_nc_u32_e32 v7, v5, v7
	v_subrev_nc_u32_e32 v9, s18, v7
	v_cmp_le_u32_e32 vcc_lo, s18, v7
	v_cndmask_b32_e32 v7, v7, v9, vcc_lo
	v_cndmask_b32_e32 v4, v4, v8, vcc_lo
	v_cmp_le_u32_e32 vcc_lo, s18, v7
	v_add_nc_u32_e32 v8, 1, v4
	v_cndmask_b32_e32 v7, v4, v8, vcc_lo
	v_mov_b32_e32 v8, v3
.LBB0_6:                                ;   in Loop: Header=BB0_2 Depth=1
	s_or_b32 exec_lo, exec_lo, s0
	s_load_dwordx2 s[0:1], s[6:7], 0x0
	v_mul_lo_u32 v4, v8, s18
	v_mul_lo_u32 v11, v7, s19
	v_mad_u64_u32 v[9:10], null, v7, s18, 0
	s_add_u32 s16, s16, 1
	s_addc_u32 s17, s17, 0
	s_add_u32 s6, s6, 8
	s_addc_u32 s7, s7, 0
	;; [unrolled: 2-line block ×3, first 2 shown]
	v_add3_u32 v4, v10, v11, v4
	v_sub_co_u32 v5, vcc_lo, v5, v9
	v_sub_co_ci_u32_e32 v4, vcc_lo, v6, v4, vcc_lo
	s_waitcnt lgkmcnt(0)
	v_mul_lo_u32 v6, s1, v5
	v_mul_lo_u32 v4, s0, v4
	v_mad_u64_u32 v[1:2], null, s0, v5, v[1:2]
	v_cmp_ge_u64_e64 s0, s[16:17], s[10:11]
	s_and_b32 vcc_lo, exec_lo, s0
	v_add3_u32 v2, v6, v2, v4
	s_cbranch_vccnz .LBB0_9
; %bb.7:                                ;   in Loop: Header=BB0_2 Depth=1
	v_mov_b32_e32 v5, v7
	v_mov_b32_e32 v6, v8
	s_branch .LBB0_2
.LBB0_8:
	v_mov_b32_e32 v8, v6
	v_mov_b32_e32 v7, v5
.LBB0_9:
	s_lshl_b64 s[0:1], s[10:11], 3
	v_mul_hi_u32 v5, 0x5050506, v0
	s_add_u32 s0, s12, s0
	s_addc_u32 s1, s13, s1
	v_mov_b32_e32 v20, 0
	s_load_dwordx2 s[0:1], s[0:1], 0x0
	s_load_dwordx2 s[4:5], s[4:5], 0x20
	v_mov_b32_e32 v21, 0
                                        ; implicit-def: $vgpr37
                                        ; implicit-def: $vgpr35
                                        ; implicit-def: $vgpr33
                                        ; implicit-def: $vgpr31
                                        ; implicit-def: $vgpr17
                                        ; implicit-def: $vgpr13
                                        ; implicit-def: $vgpr9
                                        ; implicit-def: $vgpr23
                                        ; implicit-def: $vgpr25
                                        ; implicit-def: $vgpr27
                                        ; implicit-def: $vgpr29
                                        ; implicit-def: $vgpr19
                                        ; implicit-def: $vgpr15
                                        ; implicit-def: $vgpr11
	s_waitcnt lgkmcnt(0)
	v_mul_lo_u32 v3, s0, v8
	v_mul_lo_u32 v4, s1, v7
	v_mad_u64_u32 v[1:2], null, s0, v7, v[1:2]
	v_cmp_gt_u64_e32 vcc_lo, s[4:5], v[7:8]
                                        ; implicit-def: $vgpr7
	v_add3_u32 v2, v4, v2, v3
	v_mul_u32_u24_e32 v4, 51, v5
                                        ; implicit-def: $vgpr5
	v_lshlrev_b64 v[2:3], 3, v[1:2]
	v_sub_nc_u32_e32 v0, v0, v4
	s_and_saveexec_b32 s1, vcc_lo
	s_cbranch_execz .LBB0_11
; %bb.10:
	v_mov_b32_e32 v1, 0
	v_lshlrev_b64 v[4:5], 3, v[0:1]
	v_add_co_u32 v1, s0, s2, v2
	v_add_co_ci_u32_e64 v6, s0, s3, v3, s0
	v_add_co_u32 v18, s0, v1, v4
	v_add_co_ci_u32_e64 v19, s0, v6, v5, s0
	s_clause 0x3
	global_load_dwordx2 v[20:21], v[18:19], off
	global_load_dwordx2 v[36:37], v[18:19], off offset:408
	global_load_dwordx2 v[34:35], v[18:19], off offset:816
	;; [unrolled: 1-line block ×3, first 2 shown]
	v_add_co_u32 v10, s0, 0x800, v18
	v_add_co_ci_u32_e64 v11, s0, 0, v19, s0
	v_add_co_u32 v22, s0, 0x1000, v18
	v_add_co_ci_u32_e64 v23, s0, 0, v19, s0
	s_clause 0x7
	global_load_dwordx2 v[30:31], v[18:19], off offset:1632
	global_load_dwordx2 v[16:17], v[18:19], off offset:2040
	;; [unrolled: 1-line block ×8, first 2 shown]
	v_add_co_u32 v38, s0, 0x1800, v18
	v_add_co_ci_u32_e64 v39, s0, 0, v19, s0
	s_clause 0x4
	global_load_dwordx2 v[18:19], v[22:23], off offset:800
	global_load_dwordx2 v[28:29], v[22:23], off offset:1208
	global_load_dwordx2 v[26:27], v[22:23], off offset:1616
	global_load_dwordx2 v[24:25], v[22:23], off offset:2024
	global_load_dwordx2 v[22:23], v[38:39], off offset:384
.LBB0_11:
	s_or_b32 exec_lo, exec_lo, s1
	s_waitcnt vmcnt(15)
	v_add_f32_e32 v1, v36, v20
	v_add_f32_e32 v38, v37, v21
	s_waitcnt vmcnt(0)
	v_add_f32_e32 v39, v36, v22
	v_sub_f32_e32 v36, v36, v22
	v_add_f32_e32 v40, v37, v23
	v_add_f32_e32 v1, v34, v1
	v_add_f32_e32 v38, v35, v38
	v_add_f32_e32 v46, v30, v28
	v_mul_f32_e32 v50, 0xbf2c7751, v36
	v_mul_f32_e32 v52, 0xbf65296c, v36
	v_add_f32_e32 v1, v32, v1
	v_add_f32_e32 v38, v33, v38
	v_sub_f32_e32 v37, v37, v23
	v_add_f32_e32 v41, v34, v24
	v_sub_f32_e32 v43, v34, v24
	v_add_f32_e32 v1, v30, v1
	v_add_f32_e32 v38, v31, v38
	v_sub_f32_e32 v30, v30, v28
	v_add_f32_e32 v34, v32, v26
	v_add_f32_e32 v44, v33, v27
	;; [unrolled: 1-line block ×4, first 2 shown]
	v_sub_f32_e32 v45, v32, v26
	v_sub_f32_e32 v33, v33, v27
	v_add_f32_e32 v32, v31, v29
	v_add_f32_e32 v1, v12, v1
	;; [unrolled: 1-line block ×3, first 2 shown]
	v_sub_f32_e32 v31, v31, v29
	v_mul_f32_e32 v47, 0x3f6eb680, v39
	v_mul_f32_e32 v48, 0xbeb8f4ab, v36
	v_add_f32_e32 v1, v8, v1
	v_add_f32_e32 v38, v9, v38
	v_mul_f32_e32 v49, 0x3f3d2fb0, v39
	v_fmamk_f32 v61, v40, 0x3f3d2fb0, v50
	v_mul_f32_e32 v62, 0xbf4c4adb, v36
	v_add_f32_e32 v1, v4, v1
	v_add_f32_e32 v38, v5, v38
	v_mul_f32_e32 v64, 0xbf06c442, v36
	v_mul_f32_e32 v51, 0x3ee437d1, v39
	v_mul_f32_e32 v53, 0x3dbcf732, v39
	v_add_f32_e32 v1, v6, v1
	v_add_f32_e32 v38, v7, v38
	v_mul_f32_e32 v54, 0xbf7ee86f, v36
	v_mul_f32_e32 v55, 0xbe8c1d8e, v39
	;; [unrolled: 5-line block ×3, first 2 shown]
	v_fmamk_f32 v58, v37, 0x3eb8f4ab, v47
	v_add_f32_e32 v1, v14, v1
	v_add_f32_e32 v38, v15, v38
	v_fmamk_f32 v59, v40, 0x3f6eb680, v48
	v_fmamk_f32 v60, v37, 0x3f2c7751, v49
	;; [unrolled: 1-line block ×3, first 2 shown]
	v_add_f32_e32 v1, v18, v1
	v_add_f32_e32 v38, v19, v38
	v_fmamk_f32 v66, v40, 0xbf59a7d5, v64
	v_add_f32_e32 v42, v35, v25
	v_sub_f32_e32 v35, v35, v25
	v_add_f32_e32 v1, v28, v1
	v_add_f32_e32 v28, v29, v38
	v_fma_f32 v29, 0x3f3d2fb0, v40, -v50
	v_fmamk_f32 v50, v40, 0x3ee437d1, v52
	v_fmac_f32_e32 v47, 0xbeb8f4ab, v37
	v_add_f32_e32 v1, v26, v1
	v_add_f32_e32 v26, v27, v28
	v_fma_f32 v27, 0x3ee437d1, v40, -v52
	v_mul_f32_e32 v52, 0xbf763a35, v36
	v_mul_f32_e32 v36, 0xbe3c28d5, v36
	v_add_f32_e32 v1, v24, v1
	v_add_f32_e32 v24, v25, v26
	v_fma_f32 v48, 0x3f6eb680, v40, -v48
	v_fmamk_f32 v63, v40, 0xbe8c1d8e, v52
	v_fmac_f32_e32 v49, 0xbf2c7751, v37
	v_fmamk_f32 v38, v37, 0x3f65296c, v51
	v_fmac_f32_e32 v51, 0xbf65296c, v37
	v_fmamk_f32 v28, v37, 0x3f7ee86f, v53
	v_fmac_f32_e32 v53, 0xbf7ee86f, v37
	v_fmamk_f32 v25, v37, 0x3f763a35, v55
	v_fmac_f32_e32 v55, 0xbf763a35, v37
	v_add_f32_e32 v22, v22, v1
	v_add_f32_e32 v1, v23, v24
	v_fmamk_f32 v23, v37, 0x3f4c4adb, v56
	v_fmac_f32_e32 v56, 0xbf4c4adb, v37
	v_fmamk_f32 v24, v37, 0x3f06c442, v57
	v_fmac_f32_e32 v57, 0xbf06c442, v37
	;; [unrolled: 2-line block ×3, first 2 shown]
	v_fmamk_f32 v37, v40, 0x3dbcf732, v54
	v_fma_f32 v54, 0x3dbcf732, v40, -v54
	v_fma_f32 v52, 0xbe8c1d8e, v40, -v52
	v_fma_f32 v62, 0xbf1a4643, v40, -v62
	v_fma_f32 v64, 0xbf59a7d5, v40, -v64
	v_fmamk_f32 v67, v40, 0xbf7ba420, v36
	v_fma_f32 v36, 0xbf7ba420, v40, -v36
	v_add_f32_e32 v40, v58, v20
	v_add_f32_e32 v58, v59, v21
	;; [unrolled: 1-line block ×7, first 2 shown]
	v_mul_f32_e32 v66, 0x3f3d2fb0, v41
	v_mul_f32_e32 v68, 0xbf2c7751, v43
	v_add_f32_e32 v47, v47, v20
	v_add_f32_e32 v48, v48, v21
	;; [unrolled: 1-line block ×23, first 2 shown]
	v_fmamk_f32 v69, v35, 0x3f2c7751, v66
	v_add_f32_e32 v20, v39, v20
	v_add_f32_e32 v21, v36, v21
	v_fmamk_f32 v36, v42, 0x3f3d2fb0, v68
	v_mul_f32_e32 v39, 0x3dbcf732, v41
	v_fmac_f32_e32 v66, 0xbf2c7751, v35
	v_add_f32_e32 v40, v69, v40
	v_fma_f32 v68, 0x3f3d2fb0, v42, -v68
	v_add_f32_e32 v36, v36, v58
	v_fmamk_f32 v58, v35, 0x3f7ee86f, v39
	v_mul_f32_e32 v69, 0xbf7ee86f, v43
	v_add_f32_e32 v47, v66, v47
	v_mul_f32_e32 v66, 0xbf1a4643, v41
	v_add_f32_e32 v48, v68, v48
	v_add_f32_e32 v58, v58, v59
	v_fmamk_f32 v59, v42, 0x3dbcf732, v69
	v_fmac_f32_e32 v39, 0xbf7ee86f, v35
	v_fma_f32 v68, 0x3dbcf732, v42, -v69
	v_fmamk_f32 v69, v35, 0x3f4c4adb, v66
	v_mul_f32_e32 v70, 0xbf4c4adb, v43
	v_add_f32_e32 v59, v59, v60
	v_add_f32_e32 v39, v39, v49
	;; [unrolled: 1-line block ×4, first 2 shown]
	v_fmamk_f32 v49, v42, 0xbf1a4643, v70
	v_mul_f32_e32 v60, 0xbf7ba420, v41
	v_fmac_f32_e32 v66, 0xbf4c4adb, v35
	v_fma_f32 v68, 0xbf1a4643, v42, -v70
	v_mul_f32_e32 v69, 0xbe3c28d5, v43
	v_add_f32_e32 v49, v49, v50
	v_fmamk_f32 v50, v35, 0x3e3c28d5, v60
	v_add_f32_e32 v51, v66, v51
	v_add_f32_e32 v27, v68, v27
	v_fmamk_f32 v66, v42, 0xbf7ba420, v69
	v_mul_f32_e32 v68, 0xbf59a7d5, v41
	v_add_f32_e32 v28, v50, v28
	v_fmac_f32_e32 v60, 0xbe3c28d5, v35
	v_fma_f32 v50, 0xbf7ba420, v42, -v69
	v_add_f32_e32 v37, v66, v37
	v_fmamk_f32 v66, v35, 0xbf06c442, v68
	v_mul_f32_e32 v69, 0x3f06c442, v43
	v_add_f32_e32 v53, v60, v53
	v_add_f32_e32 v50, v50, v54
	v_mul_f32_e32 v54, 0xbe8c1d8e, v41
	v_add_f32_e32 v25, v66, v25
	v_fmamk_f32 v60, v42, 0xbf59a7d5, v69
	v_fmac_f32_e32 v68, 0x3f06c442, v35
	v_fma_f32 v66, 0xbf59a7d5, v42, -v69
	v_mul_f32_e32 v70, 0x3f763a35, v43
	v_fmamk_f32 v69, v35, 0xbf763a35, v54
	v_add_f32_e32 v60, v60, v61
	v_add_f32_e32 v55, v68, v55
	v_add_f32_e32 v52, v66, v52
	v_fmamk_f32 v61, v42, 0xbe8c1d8e, v70
	v_fmac_f32_e32 v54, 0x3f763a35, v35
	v_mul_f32_e32 v66, 0x3ee437d1, v41
	v_mul_f32_e32 v68, 0x3f65296c, v43
	;; [unrolled: 1-line block ×3, first 2 shown]
	v_add_f32_e32 v61, v61, v63
	v_add_f32_e32 v54, v54, v56
	v_fmamk_f32 v56, v35, 0xbf65296c, v66
	v_fmamk_f32 v63, v42, 0x3ee437d1, v68
	v_fmac_f32_e32 v66, 0x3f65296c, v35
	v_mul_f32_e32 v43, 0x3eb8f4ab, v43
	v_add_f32_e32 v23, v69, v23
	v_add_f32_e32 v24, v56, v24
	;; [unrolled: 1-line block ×4, first 2 shown]
	v_fmamk_f32 v63, v35, 0xbeb8f4ab, v41
	v_fma_f32 v65, 0x3ee437d1, v42, -v68
	v_fmac_f32_e32 v41, 0x3eb8f4ab, v35
	v_mul_f32_e32 v66, 0x3ee437d1, v34
	v_fma_f32 v69, 0xbe8c1d8e, v42, -v70
	v_fmamk_f32 v35, v42, 0x3f6eb680, v43
	v_fma_f32 v42, 0x3f6eb680, v42, -v43
	v_add_f32_e32 v43, v65, v64
	v_add_f32_e32 v26, v63, v26
	v_fmamk_f32 v63, v33, 0x3f65296c, v66
	v_mul_f32_e32 v64, 0xbf65296c, v45
	v_add_f32_e32 v20, v41, v20
	v_mul_f32_e32 v41, 0xbf1a4643, v34
	v_add_f32_e32 v21, v42, v21
	v_add_f32_e32 v40, v63, v40
	v_fmamk_f32 v42, v44, 0x3ee437d1, v64
	v_fmac_f32_e32 v66, 0xbf65296c, v33
	v_fma_f32 v63, 0x3ee437d1, v44, -v64
	v_fmamk_f32 v64, v33, 0x3f4c4adb, v41
	v_mul_f32_e32 v65, 0xbf4c4adb, v45
	v_add_f32_e32 v36, v42, v36
	v_add_f32_e32 v42, v66, v47
	;; [unrolled: 1-line block ×4, first 2 shown]
	v_fmamk_f32 v58, v44, 0xbf1a4643, v65
	v_mul_f32_e32 v63, 0xbf7ba420, v34
	v_fmac_f32_e32 v41, 0xbf4c4adb, v33
	v_fma_f32 v64, 0xbf1a4643, v44, -v65
	v_mul_f32_e32 v65, 0x3e3c28d5, v45
	v_add_f32_e32 v58, v58, v59
	v_fmamk_f32 v59, v33, 0xbe3c28d5, v63
	v_add_f32_e32 v39, v41, v39
	v_add_f32_e32 v29, v64, v29
	v_fmamk_f32 v41, v44, 0xbf7ba420, v65
	v_mul_f32_e32 v64, 0xbe8c1d8e, v34
	v_add_f32_e32 v38, v59, v38
	v_fmac_f32_e32 v63, 0x3e3c28d5, v33
	v_fma_f32 v59, 0xbf7ba420, v44, -v65
	v_add_f32_e32 v41, v41, v49
	v_fmamk_f32 v49, v33, 0xbf763a35, v64
	v_mul_f32_e32 v65, 0x3f763a35, v45
	v_add_f32_e32 v51, v63, v51
	v_add_f32_e32 v27, v59, v27
	v_mul_f32_e32 v59, 0x3f3d2fb0, v34
	v_add_f32_e32 v28, v49, v28
	v_fmamk_f32 v49, v44, 0xbe8c1d8e, v65
	v_fmac_f32_e32 v64, 0x3f763a35, v33
	v_fma_f32 v63, 0xbe8c1d8e, v44, -v65
	v_mul_f32_e32 v66, 0x3f2c7751, v45
	v_fmamk_f32 v65, v33, 0xbf2c7751, v59
	v_add_f32_e32 v37, v49, v37
	v_add_f32_e32 v49, v64, v53
	;; [unrolled: 1-line block ×3, first 2 shown]
	v_fmamk_f32 v53, v44, 0x3f3d2fb0, v66
	v_mul_f32_e32 v63, 0x3f6eb680, v34
	v_add_f32_e32 v25, v65, v25
	v_fmac_f32_e32 v59, 0x3f2c7751, v33
	v_fma_f32 v64, 0x3f3d2fb0, v44, -v66
	v_mul_f32_e32 v65, 0xbeb8f4ab, v45
	v_add_f32_e32 v53, v53, v60
	v_fmamk_f32 v60, v33, 0x3eb8f4ab, v63
	v_add_f32_e32 v62, v69, v62
	v_add_f32_e32 v55, v59, v55
	;; [unrolled: 1-line block ×3, first 2 shown]
	v_fmamk_f32 v59, v44, 0x3f6eb680, v65
	v_mul_f32_e32 v64, 0x3dbcf732, v34
	v_add_f32_e32 v23, v60, v23
	v_fma_f32 v60, 0x3f6eb680, v44, -v65
	v_mul_f32_e32 v65, 0xbf7ee86f, v45
	v_fmac_f32_e32 v63, 0xbeb8f4ab, v33
	v_add_f32_e32 v59, v59, v61
	v_fmamk_f32 v61, v33, 0x3f7ee86f, v64
	v_add_f32_e32 v60, v60, v62
	v_mul_f32_e32 v34, 0xbf59a7d5, v34
	v_fma_f32 v62, 0x3dbcf732, v44, -v65
	v_add_f32_e32 v54, v63, v54
	v_add_f32_e32 v24, v61, v24
	v_fmamk_f32 v61, v44, 0x3dbcf732, v65
	v_fmamk_f32 v63, v33, 0x3f06c442, v34
	v_mul_f32_e32 v45, 0xbf06c442, v45
	v_add_f32_e32 v43, v62, v43
	v_mul_f32_e32 v62, 0x3dbcf732, v46
	v_fmac_f32_e32 v34, 0xbf06c442, v33
	v_add_f32_e32 v35, v35, v67
	v_fmac_f32_e32 v64, 0xbf7ee86f, v33
	v_add_f32_e32 v56, v61, v56
	v_fmamk_f32 v61, v44, 0xbf59a7d5, v45
	v_fma_f32 v33, 0xbf59a7d5, v44, -v45
	v_mul_f32_e32 v44, 0xbf7ee86f, v30
	v_fmamk_f32 v45, v31, 0x3f7ee86f, v62
	v_add_f32_e32 v20, v34, v20
	v_mul_f32_e32 v34, 0xbf7ba420, v46
	v_add_f32_e32 v35, v61, v35
	v_add_f32_e32 v21, v33, v21
	v_fmamk_f32 v33, v32, 0x3dbcf732, v44
	v_add_f32_e32 v40, v45, v40
	v_fmac_f32_e32 v62, 0xbf7ee86f, v31
	v_fma_f32 v44, 0x3dbcf732, v32, -v44
	v_mul_f32_e32 v45, 0xbe3c28d5, v30
	v_fmamk_f32 v61, v31, 0x3e3c28d5, v34
	v_add_f32_e32 v33, v33, v36
	v_add_f32_e32 v36, v62, v42
	;; [unrolled: 1-line block ×3, first 2 shown]
	v_fmamk_f32 v44, v32, 0xbf7ba420, v45
	v_add_f32_e32 v47, v61, v48
	v_mul_f32_e32 v48, 0xbe8c1d8e, v46
	v_fmac_f32_e32 v34, 0xbe3c28d5, v31
	v_mul_f32_e32 v61, 0x3f763a35, v30
	v_add_f32_e32 v58, v44, v58
	v_add_f32_e32 v26, v63, v26
	v_fmamk_f32 v44, v31, 0xbf763a35, v48
	v_add_f32_e32 v34, v34, v39
	v_fmamk_f32 v39, v32, 0xbe8c1d8e, v61
	v_fma_f32 v45, 0xbf7ba420, v32, -v45
	v_fmac_f32_e32 v48, 0x3f763a35, v31
	v_add_f32_e32 v62, v44, v38
	v_fma_f32 v38, 0xbe8c1d8e, v32, -v61
	v_mul_f32_e32 v44, 0x3eb8f4ab, v30
	v_add_f32_e32 v63, v39, v41
	v_mul_f32_e32 v39, 0x3ee437d1, v46
	v_add_f32_e32 v29, v45, v29
	v_add_f32_e32 v27, v38, v27
	v_fmamk_f32 v38, v32, 0x3f6eb680, v44
	v_mul_f32_e32 v45, 0x3f6eb680, v46
	v_add_f32_e32 v48, v48, v51
	v_fma_f32 v41, 0x3f6eb680, v32, -v44
	v_mul_f32_e32 v44, 0xbf65296c, v30
	v_add_f32_e32 v51, v38, v37
	v_fmamk_f32 v37, v31, 0x3f65296c, v39
	v_fmamk_f32 v61, v31, 0xbeb8f4ab, v45
	v_fmac_f32_e32 v45, 0x3eb8f4ab, v31
	v_add_f32_e32 v50, v41, v50
	v_fmamk_f32 v38, v32, 0x3ee437d1, v44
	v_mul_f32_e32 v41, 0xbf59a7d5, v46
	v_fmac_f32_e32 v39, 0xbf65296c, v31
	v_add_f32_e32 v25, v37, v25
	v_fma_f32 v37, 0x3ee437d1, v32, -v44
	v_mul_f32_e32 v44, 0xbf06c442, v30
	v_add_f32_e32 v49, v45, v49
	v_fmamk_f32 v45, v31, 0x3f06c442, v41
	v_add_f32_e32 v53, v38, v53
	v_add_f32_e32 v55, v39, v55
	v_fmac_f32_e32 v41, 0xbf06c442, v31
	v_fma_f32 v38, 0xbf59a7d5, v32, -v44
	v_mul_f32_e32 v39, 0xbf1a4643, v46
	v_add_f32_e32 v28, v61, v28
	v_add_f32_e32 v65, v16, v18
	;; [unrolled: 1-line block ×4, first 2 shown]
	v_fmamk_f32 v38, v31, 0xbf4c4adb, v39
	v_mul_f32_e32 v41, 0x3f3d2fb0, v46
	v_add_f32_e32 v52, v37, v52
	v_fmamk_f32 v37, v32, 0xbf59a7d5, v44
	v_sub_f32_e32 v67, v17, v19
	v_add_f32_e32 v61, v38, v24
	v_fmamk_f32 v24, v31, 0xbf2c7751, v41
	v_sub_f32_e32 v18, v16, v18
	v_add_f32_e32 v59, v37, v59
	v_mul_f32_e32 v37, 0x3f4c4adb, v30
	v_add_f32_e32 v68, v17, v19
	v_add_f32_e32 v66, v24, v26
	v_mul_f32_e32 v24, 0x3f2c7751, v30
	v_mul_f32_e32 v26, 0xbe8c1d8e, v65
	;; [unrolled: 1-line block ×3, first 2 shown]
	v_fmamk_f32 v44, v32, 0xbf1a4643, v37
	v_fma_f32 v37, 0xbf1a4643, v32, -v37
	v_fmamk_f32 v16, v32, 0x3f3d2fb0, v24
	v_fmamk_f32 v17, v67, 0x3f763a35, v26
	v_fmac_f32_e32 v41, 0x3f2c7751, v31
	v_add_f32_e32 v57, v64, v57
	v_add_f32_e32 v23, v45, v23
	;; [unrolled: 1-line block ×4, first 2 shown]
	v_fmamk_f32 v16, v68, 0xbe8c1d8e, v19
	v_mul_f32_e32 v17, 0xbf59a7d5, v65
	v_add_f32_e32 v64, v37, v43
	v_fma_f32 v24, 0x3f3d2fb0, v32, -v24
	v_add_f32_e32 v45, v41, v20
	v_fma_f32 v19, 0xbe8c1d8e, v68, -v19
	v_mul_f32_e32 v20, 0x3f06c442, v18
	v_add_f32_e32 v43, v16, v33
	v_fmamk_f32 v16, v67, 0xbf06c442, v17
	v_add_f32_e32 v56, v44, v56
	v_add_f32_e32 v46, v24, v21
	v_fmac_f32_e32 v26, 0xbf763a35, v67
	v_add_f32_e32 v42, v19, v42
	v_fmamk_f32 v19, v68, 0xbf59a7d5, v20
	v_mul_f32_e32 v21, 0x3f3d2fb0, v65
	v_add_f32_e32 v44, v16, v47
	v_fma_f32 v16, 0xbf59a7d5, v68, -v20
	v_fmac_f32_e32 v39, 0x3f4c4adb, v31
	v_add_f32_e32 v41, v26, v36
	v_fmac_f32_e32 v17, 0x3f06c442, v67
	v_add_f32_e32 v36, v19, v58
	v_fmamk_f32 v19, v67, 0xbf2c7751, v21
	v_mul_f32_e32 v20, 0x3f2c7751, v18
	v_add_f32_e32 v38, v16, v29
	v_mul_f32_e32 v16, 0x3ee437d1, v65
	v_add_f32_e32 v57, v39, v57
	v_add_f32_e32 v37, v17, v34
	;; [unrolled: 1-line block ×3, first 2 shown]
	v_fmamk_f32 v17, v68, 0x3f3d2fb0, v20
	v_fmac_f32_e32 v21, 0x3f2c7751, v67
	v_fma_f32 v19, 0x3f3d2fb0, v68, -v20
	v_fmamk_f32 v20, v67, 0x3f65296c, v16
	v_mul_f32_e32 v24, 0xbf65296c, v18
	v_add_f32_e32 v35, v17, v63
	v_add_f32_e32 v33, v21, v48
	;; [unrolled: 1-line block ×4, first 2 shown]
	v_fmamk_f32 v17, v68, 0x3ee437d1, v24
	v_mul_f32_e32 v19, 0xbf7ba420, v65
	v_fmac_f32_e32 v16, 0xbf65296c, v67
	v_fma_f32 v20, 0x3ee437d1, v68, -v24
	v_mul_f32_e32 v21, 0xbe3c28d5, v18
	v_add_f32_e32 v31, v17, v51
	v_fmamk_f32 v17, v67, 0x3e3c28d5, v19
	v_add_f32_e32 v29, v16, v49
	v_add_f32_e32 v30, v20, v50
	v_fmamk_f32 v16, v68, 0xbf7ba420, v21
	v_mul_f32_e32 v20, 0x3dbcf732, v65
	v_fmac_f32_e32 v19, 0xbe3c28d5, v67
	v_add_f32_e32 v32, v17, v25
	v_fma_f32 v17, 0xbf7ba420, v68, -v21
	v_add_f32_e32 v24, v16, v53
	v_fmamk_f32 v16, v67, 0xbf7ee86f, v20
	v_mul_f32_e32 v21, 0x3f7ee86f, v18
	v_add_f32_e32 v25, v19, v55
	v_mul_f32_e32 v19, 0x3f6eb680, v65
	v_mul_f32_e32 v49, 0xbeb8f4ab, v18
	v_add_f32_e32 v27, v16, v23
	v_fmamk_f32 v16, v68, 0x3dbcf732, v21
	v_mul_f32_e32 v51, 0xbf4c4adb, v18
	v_fmamk_f32 v47, v67, 0x3eb8f4ab, v19
	v_add_f32_e32 v26, v17, v52
	v_fma_f32 v17, 0x3dbcf732, v68, -v21
	v_add_f32_e32 v23, v16, v59
	v_mul_f32_e32 v48, 0xbf1a4643, v65
	v_add_f32_e32 v16, v47, v61
	v_fmac_f32_e32 v19, 0xbeb8f4ab, v67
	v_fma_f32 v47, 0x3f6eb680, v68, -v49
	v_fmamk_f32 v52, v68, 0xbf1a4643, v51
	v_add_f32_e32 v50, v12, v14
	v_sub_f32_e32 v14, v12, v14
	v_add_f32_e32 v21, v17, v60
	v_fmamk_f32 v17, v68, 0x3f6eb680, v49
	v_fmamk_f32 v49, v67, 0x3f4c4adb, v48
	v_add_f32_e32 v18, v19, v57
	v_add_f32_e32 v19, v47, v64
	v_add_f32_e32 v47, v52, v69
	v_sub_f32_e32 v12, v13, v15
	v_mul_f32_e32 v52, 0xbf1a4643, v50
	v_fmac_f32_e32 v48, 0xbf4c4adb, v67
	v_fma_f32 v51, 0xbf1a4643, v68, -v51
	v_add_f32_e32 v13, v13, v15
	v_mul_f32_e32 v15, 0xbf4c4adb, v14
	v_fmamk_f32 v53, v12, 0x3f4c4adb, v52
	v_add_f32_e32 v45, v48, v45
	v_add_f32_e32 v46, v51, v46
	v_mul_f32_e32 v48, 0xbe8c1d8e, v50
	v_fmamk_f32 v51, v13, 0xbf1a4643, v15
	v_add_f32_e32 v40, v53, v40
	v_fmac_f32_e32 v52, 0xbf4c4adb, v12
	v_fma_f32 v15, 0xbf1a4643, v13, -v15
	v_fmamk_f32 v53, v12, 0xbf763a35, v48
	v_add_f32_e32 v43, v51, v43
	v_mul_f32_e32 v51, 0x3f763a35, v14
	v_fmac_f32_e32 v20, 0x3f7ee86f, v67
	v_add_f32_e32 v41, v52, v41
	v_add_f32_e32 v15, v15, v42
	;; [unrolled: 1-line block ×3, first 2 shown]
	v_mul_f32_e32 v44, 0x3f6eb680, v50
	v_fmamk_f32 v52, v13, 0xbe8c1d8e, v51
	v_fmac_f32_e32 v48, 0x3f763a35, v12
	v_fma_f32 v51, 0xbe8c1d8e, v13, -v51
	v_mul_f32_e32 v53, 0xbeb8f4ab, v14
	v_add_f32_e32 v20, v20, v54
	v_fmamk_f32 v54, v12, 0x3eb8f4ab, v44
	v_add_f32_e32 v37, v48, v37
	v_add_f32_e32 v38, v51, v38
	v_fmamk_f32 v48, v13, 0x3f6eb680, v53
	v_mul_f32_e32 v51, 0xbf59a7d5, v50
	v_fmac_f32_e32 v44, 0xbeb8f4ab, v12
	v_add_f32_e32 v36, v52, v36
	v_fma_f32 v52, 0x3f6eb680, v13, -v53
	v_add_f32_e32 v35, v48, v35
	v_mul_f32_e32 v48, 0xbf06c442, v14
	v_fmamk_f32 v53, v12, 0x3f06c442, v51
	v_add_f32_e32 v33, v44, v33
	v_mul_f32_e32 v44, 0x3dbcf732, v50
	v_add_f32_e32 v34, v52, v34
	v_fmamk_f32 v52, v13, 0xbf59a7d5, v48
	v_add_f32_e32 v28, v53, v28
	v_fma_f32 v48, 0xbf59a7d5, v13, -v48
	v_fmamk_f32 v53, v12, 0xbf7ee86f, v44
	v_fmac_f32_e32 v51, 0xbf06c442, v12
	v_add_f32_e32 v31, v52, v31
	v_mul_f32_e32 v52, 0x3f7ee86f, v14
	v_add_f32_e32 v30, v48, v30
	v_add_f32_e32 v32, v53, v32
	v_mul_f32_e32 v48, 0x3f3d2fb0, v50
	v_fmac_f32_e32 v44, 0x3f7ee86f, v12
	v_mul_f32_e32 v53, 0xbf2c7751, v14
	v_add_f32_e32 v39, v54, v39
	v_add_f32_e32 v29, v51, v29
	v_fmamk_f32 v51, v13, 0x3dbcf732, v52
	v_fma_f32 v52, 0x3dbcf732, v13, -v52
	v_fmamk_f32 v54, v12, 0x3f2c7751, v48
	v_add_f32_e32 v25, v44, v25
	v_fmamk_f32 v44, v13, 0x3f3d2fb0, v53
	v_fmac_f32_e32 v48, 0xbf2c7751, v12
	v_add_f32_e32 v26, v52, v26
	v_fma_f32 v52, 0x3f3d2fb0, v13, -v53
	v_add_f32_e32 v49, v49, v66
	v_add_f32_e32 v23, v44, v23
	v_mul_f32_e32 v44, 0xbe3c28d5, v14
	v_add_f32_e32 v20, v48, v20
	v_mul_f32_e32 v48, 0x3ee437d1, v50
	;; [unrolled: 2-line block ×3, first 2 shown]
	v_add_f32_e32 v21, v52, v21
	v_fmamk_f32 v50, v13, 0xbf7ba420, v44
	v_fma_f32 v44, 0xbf7ba420, v13, -v44
	v_fmamk_f32 v52, v12, 0xbf65296c, v48
	v_add_f32_e32 v17, v17, v56
	v_mul_f32_e32 v14, 0x3f65296c, v14
	v_fmamk_f32 v53, v12, 0x3e3c28d5, v51
	v_add_f32_e32 v19, v44, v19
	v_add_f32_e32 v44, v52, v49
	v_add_f32_e32 v49, v8, v10
	v_sub_f32_e32 v8, v8, v10
	v_fmac_f32_e32 v51, 0xbe3c28d5, v12
	v_add_f32_e32 v17, v50, v17
	v_fmamk_f32 v50, v13, 0x3ee437d1, v14
	v_fmac_f32_e32 v48, 0x3f65296c, v12
	v_sub_f32_e32 v10, v9, v11
	v_mul_f32_e32 v12, 0xbf59a7d5, v49
	v_fma_f32 v13, 0x3ee437d1, v13, -v14
	v_add_f32_e32 v9, v9, v11
	v_mul_f32_e32 v11, 0xbf06c442, v8
	v_add_f32_e32 v14, v50, v47
	v_fmamk_f32 v47, v10, 0x3f06c442, v12
	v_add_f32_e32 v45, v48, v45
	v_add_f32_e32 v13, v13, v46
	v_fmamk_f32 v46, v9, 0xbf59a7d5, v11
	v_mul_f32_e32 v48, 0x3ee437d1, v49
	v_add_f32_e32 v40, v47, v40
	v_fmac_f32_e32 v12, 0xbf06c442, v10
	v_fma_f32 v11, 0xbf59a7d5, v9, -v11
	v_add_f32_e32 v43, v46, v43
	v_fmamk_f32 v46, v10, 0xbf65296c, v48
	v_mul_f32_e32 v47, 0x3f65296c, v8
	v_add_f32_e32 v12, v12, v41
	v_add_f32_e32 v11, v11, v15
	v_mul_f32_e32 v15, 0x3dbcf732, v49
	v_add_f32_e32 v41, v46, v42
	v_fmamk_f32 v42, v9, 0x3ee437d1, v47
	v_fma_f32 v46, 0x3ee437d1, v9, -v47
	v_mul_f32_e32 v50, 0xbf7ee86f, v8
	v_fmac_f32_e32 v48, 0x3f65296c, v10
	v_fmamk_f32 v47, v10, 0x3f7ee86f, v15
	v_add_f32_e32 v36, v42, v36
	v_add_f32_e32 v38, v46, v38
	v_fmamk_f32 v42, v9, 0x3dbcf732, v50
	v_mul_f32_e32 v46, 0xbf1a4643, v49
	v_add_f32_e32 v37, v48, v37
	v_add_f32_e32 v39, v47, v39
	v_fmac_f32_e32 v15, 0xbf7ee86f, v10
	v_fma_f32 v47, 0x3dbcf732, v9, -v50
	v_mul_f32_e32 v48, 0x3f4c4adb, v8
	v_add_f32_e32 v35, v42, v35
	v_fmamk_f32 v42, v10, 0xbf4c4adb, v46
	v_add_f32_e32 v15, v15, v33
	v_add_f32_e32 v33, v47, v34
	v_fmamk_f32 v34, v9, 0xbf1a4643, v48
	v_mul_f32_e32 v47, 0x3f6eb680, v49
	v_add_f32_e32 v28, v42, v28
	v_fma_f32 v42, 0xbf1a4643, v9, -v48
	v_fmac_f32_e32 v46, 0x3f4c4adb, v10
	v_add_f32_e32 v31, v34, v31
	v_fmamk_f32 v34, v10, 0x3eb8f4ab, v47
	v_mul_f32_e32 v48, 0xbeb8f4ab, v8
	v_add_f32_e32 v30, v42, v30
	v_mul_f32_e32 v42, 0xbf7ba420, v49
	v_add_f32_e32 v27, v54, v27
	v_add_f32_e32 v29, v46, v29
	;; [unrolled: 1-line block ×3, first 2 shown]
	v_fmamk_f32 v34, v9, 0x3f6eb680, v48
	v_fmac_f32_e32 v47, 0xbeb8f4ab, v10
	v_fma_f32 v46, 0x3f6eb680, v9, -v48
	v_fmamk_f32 v48, v10, 0x3e3c28d5, v42
	v_mul_f32_e32 v50, 0xbe3c28d5, v8
	v_add_f32_e32 v24, v34, v24
	v_add_f32_e32 v25, v47, v25
	;; [unrolled: 1-line block ×4, first 2 shown]
	v_fmamk_f32 v34, v9, 0xbf7ba420, v50
	v_mul_f32_e32 v46, 0x3f3d2fb0, v49
	v_fmac_f32_e32 v42, 0xbe3c28d5, v10
	v_mul_f32_e32 v47, 0x3f2c7751, v8
	v_fma_f32 v48, 0xbf7ba420, v9, -v50
	v_add_f32_e32 v16, v53, v16
	v_add_f32_e32 v18, v51, v18
	;; [unrolled: 1-line block ×3, first 2 shown]
	v_fmamk_f32 v34, v10, 0xbf2c7751, v46
	v_add_f32_e32 v20, v42, v20
	v_fmamk_f32 v42, v9, 0x3f3d2fb0, v47
	v_add_f32_e32 v21, v48, v21
	v_mul_f32_e32 v48, 0xbe8c1d8e, v49
	v_fmac_f32_e32 v46, 0x3f2c7751, v10
	v_add_f32_e32 v16, v34, v16
	v_add_f32_e32 v17, v42, v17
	v_fma_f32 v34, 0x3f3d2fb0, v9, -v47
	v_fmamk_f32 v42, v10, 0x3f763a35, v48
	v_add_f32_e32 v18, v46, v18
	v_add_f32_e32 v46, v4, v6
	v_mul_f32_e32 v8, 0xbf763a35, v8
	v_add_f32_e32 v19, v34, v19
	v_add_f32_e32 v34, v42, v44
	v_sub_f32_e32 v44, v5, v7
	v_mul_f32_e32 v47, 0xbf7ba420, v46
	v_sub_f32_e32 v4, v4, v6
	v_fmamk_f32 v42, v9, 0xbe8c1d8e, v8
	v_fma_f32 v6, 0xbe8c1d8e, v9, -v8
	v_add_f32_e32 v5, v5, v7
	v_fmamk_f32 v7, v44, 0x3e3c28d5, v47
	v_mul_f32_e32 v8, 0xbe3c28d5, v4
	v_fmac_f32_e32 v48, 0xbf763a35, v10
	v_add_f32_e32 v9, v42, v14
	v_add_f32_e32 v6, v6, v13
	;; [unrolled: 1-line block ×3, first 2 shown]
	v_fmamk_f32 v13, v5, 0xbf7ba420, v8
	v_mul_f32_e32 v14, 0x3f6eb680, v46
	v_fma_f32 v8, 0xbf7ba420, v5, -v8
	v_mul_f32_e32 v40, 0x3eb8f4ab, v4
	v_add_f32_e32 v10, v48, v45
	v_add_f32_e32 v48, v13, v43
	v_fmamk_f32 v13, v44, 0xbeb8f4ab, v14
	v_add_f32_e32 v11, v8, v11
	v_fmamk_f32 v8, v5, 0x3f6eb680, v40
	v_mul_f32_e32 v42, 0xbf59a7d5, v46
	v_fmac_f32_e32 v14, 0x3eb8f4ab, v44
	v_add_f32_e32 v13, v13, v41
	v_fma_f32 v40, 0x3f6eb680, v5, -v40
	v_add_f32_e32 v8, v8, v36
	v_fmamk_f32 v36, v44, 0x3f06c442, v42
	v_mul_f32_e32 v41, 0xbf06c442, v4
	v_add_f32_e32 v14, v14, v37
	v_mul_f32_e32 v37, 0x3f3d2fb0, v46
	v_add_f32_e32 v38, v40, v38
	v_add_f32_e32 v36, v36, v39
	v_fmamk_f32 v39, v5, 0xbf59a7d5, v41
	v_fmac_f32_e32 v42, 0xbf06c442, v44
	v_fma_f32 v40, 0xbf59a7d5, v5, -v41
	v_fmamk_f32 v41, v44, 0xbf2c7751, v37
	v_mul_f32_e32 v43, 0x3f2c7751, v4
	v_add_f32_e32 v35, v39, v35
	v_add_f32_e32 v15, v42, v15
	;; [unrolled: 1-line block ×4, first 2 shown]
	v_fmamk_f32 v33, v5, 0x3f3d2fb0, v43
	v_mul_f32_e32 v40, 0xbf1a4643, v46
	v_fmac_f32_e32 v37, 0x3f2c7751, v44
	v_fma_f32 v41, 0x3f3d2fb0, v5, -v43
	v_mul_f32_e32 v42, 0xbf4c4adb, v4
	v_add_f32_e32 v31, v33, v31
	v_fmamk_f32 v33, v44, 0x3f4c4adb, v40
	v_add_f32_e32 v29, v37, v29
	v_add_f32_e32 v30, v41, v30
	v_fmamk_f32 v37, v5, 0xbf1a4643, v42
	v_mul_f32_e32 v41, 0x3ee437d1, v46
	v_add_f32_e32 v32, v33, v32
	v_fmac_f32_e32 v40, 0xbf4c4adb, v44
	v_fma_f32 v33, 0xbf1a4643, v5, -v42
	v_add_f32_e32 v24, v37, v24
	v_fmamk_f32 v37, v44, 0xbf65296c, v41
	v_mul_f32_e32 v42, 0x3f65296c, v4
	v_add_f32_e32 v25, v40, v25
	v_add_f32_e32 v26, v33, v26
	v_mul_f32_e32 v33, 0xbe8c1d8e, v46
	v_add_f32_e32 v27, v37, v27
	v_fmamk_f32 v37, v5, 0x3ee437d1, v42
	v_fmac_f32_e32 v41, 0x3f65296c, v44
	v_fma_f32 v40, 0x3ee437d1, v5, -v42
	v_mul_f32_e32 v43, 0xbf763a35, v4
	v_fmamk_f32 v42, v44, 0x3f763a35, v33
	v_add_f32_e32 v23, v37, v23
	v_add_f32_e32 v20, v41, v20
	;; [unrolled: 1-line block ×3, first 2 shown]
	v_fmamk_f32 v37, v5, 0xbe8c1d8e, v43
	v_fmac_f32_e32 v33, 0xbf763a35, v44
	v_fma_f32 v40, 0xbe8c1d8e, v5, -v43
	v_mul_f32_e32 v41, 0x3dbcf732, v46
	v_mul_f32_e32 v4, 0x3f7ee86f, v4
	v_add_f32_e32 v46, v37, v17
	v_add_f32_e32 v17, v33, v18
	;; [unrolled: 1-line block ×3, first 2 shown]
	v_fmamk_f32 v19, v44, 0xbf7ee86f, v41
	v_fmac_f32_e32 v41, 0x3f7ee86f, v44
	v_fmamk_f32 v33, v5, 0x3dbcf732, v4
	v_fma_f32 v4, 0x3dbcf732, v5, -v4
	v_mad_u32_u24 v37, 0x44, v0, 0
	v_add_f32_e32 v5, v19, v34
	v_add_f32_e32 v10, v41, v10
	;; [unrolled: 1-line block ×3, first 2 shown]
	ds_write2_b32 v37, v22, v7 offset1:1
	ds_write2_b32 v37, v13, v36 offset0:2 offset1:3
	ds_write2_b32 v37, v28, v32 offset0:4 offset1:5
	;; [unrolled: 1-line block ×7, first 2 shown]
	v_and_b32_e32 v5, 0xff, v0
	v_lshlrev_b32_e32 v40, 6, v0
	v_fmac_f32_e32 v47, 0xbe3c28d5, v44
	v_add_f32_e32 v4, v4, v6
	v_add_f32_e32 v9, v33, v9
	v_mul_lo_u16 v5, 0xf1, v5
	v_sub_nc_u32_e32 v43, v37, v40
	v_add_f32_e32 v12, v47, v12
	v_sub_nc_u32_e32 v40, 0, v40
	v_cmp_gt_u32_e64 s0, 34, v0
	v_lshrrev_b16 v7, 12, v5
	v_add_nc_u32_e32 v19, 0x400, v43
	v_add_nc_u32_e32 v6, 0x600, v43
	v_add_nc_u32_e32 v15, 0x800, v43
	ds_write_b32 v37, v12 offset:64
	v_mul_lo_u16 v5, v7, 17
	s_waitcnt lgkmcnt(0)
	s_barrier
	buffer_gl0_inv
	ds_read2_b32 v[13:14], v43 offset1:51
	ds_read2_b32 v[16:17], v43 offset0:102 offset1:153
	ds_read2_b32 v[28:29], v43 offset0:204 offset1:255
	;; [unrolled: 1-line block ×7, first 2 shown]
	ds_read_b32 v79, v43 offset:3264
	s_waitcnt lgkmcnt(0)
	s_barrier
	buffer_gl0_inv
	ds_write2_b32 v37, v1, v48 offset1:1
	ds_write2_b32 v37, v8, v35 offset0:2 offset1:3
	ds_write2_b32 v37, v31, v24 offset0:4 offset1:5
	;; [unrolled: 1-line block ×3, first 2 shown]
	v_sub_nc_u16 v8, v0, v5
	v_mov_b32_e32 v1, 7
	ds_write2_b32 v37, v9, v4 offset0:8 offset1:9
	ds_write2_b32 v37, v18, v21 offset0:10 offset1:11
	;; [unrolled: 1-line block ×4, first 2 shown]
	ds_write_b32 v37, v11 offset:64
	s_waitcnt lgkmcnt(0)
	s_barrier
	v_lshlrev_b32_sdwa v1, v1, v8 dst_sel:DWORD dst_unused:UNUSED_PAD src0_sel:DWORD src1_sel:BYTE_0
	buffer_gl0_inv
	s_clause 0x7
	global_load_dwordx4 v[9:12], v1, s[8:9]
	global_load_dwordx4 v[20:23], v1, s[8:9] offset:16
	global_load_dwordx4 v[24:27], v1, s[8:9] offset:32
	;; [unrolled: 1-line block ×7, first 2 shown]
	ds_read2_b32 v[4:5], v43 offset1:51
	ds_read2_b32 v[30:31], v43 offset0:102 offset1:153
	ds_read2_b32 v[75:76], v43 offset0:204 offset1:255
	;; [unrolled: 1-line block ×3, first 2 shown]
	v_add_nc_u32_e32 v40, v37, v40
                                        ; implicit-def: $vgpr37
	s_waitcnt vmcnt(7) lgkmcnt(3)
	v_mul_f32_e32 v1, v5, v10
	v_mul_f32_e32 v49, v14, v10
	s_waitcnt lgkmcnt(2)
	v_mul_f32_e32 v10, v30, v12
	v_mul_f32_e32 v46, v16, v12
	s_waitcnt vmcnt(6)
	v_mul_f32_e32 v38, v17, v21
	v_fma_f32 v50, v14, v9, -v1
	v_fmac_f32_e32 v49, v5, v9
	v_fma_f32 v47, v16, v11, -v10
	ds_read2_b32 v[9:10], v19 offset0:152 offset1:203
	v_mul_f32_e32 v1, v31, v21
	v_fmac_f32_e32 v46, v30, v11
	s_waitcnt lgkmcnt(2)
	v_mul_f32_e32 v5, v75, v23
	ds_read2_b32 v[11:12], v6 offset0:126 offset1:177
	v_mul_f32_e32 v35, v28, v23
	v_fma_f32 v39, v17, v20, -v1
	v_fmac_f32_e32 v38, v31, v20
	v_fma_f32 v36, v28, v22, -v5
	s_waitcnt vmcnt(5)
	v_mul_f32_e32 v31, v29, v25
	s_waitcnt lgkmcnt(2)
	v_mul_f32_e32 v5, v77, v27
	ds_read2_b32 v[16:17], v15 offset0:100 offset1:151
	v_mul_f32_e32 v1, v76, v25
	v_fmac_f32_e32 v35, v75, v22
	v_fmac_f32_e32 v31, v76, v24
	v_fma_f32 v28, v33, v26, -v5
	s_waitcnt vmcnt(4)
	v_mul_f32_e32 v5, v78, v52
	ds_read2_b32 v[75:76], v15 offset0:202 offset1:253
	ds_read_b32 v14, v43 offset:3264
	v_fma_f32 v32, v29, v24, -v1
	v_mul_f32_e32 v1, v41, v54
	s_waitcnt lgkmcnt(4)
	v_mul_f32_e32 v6, v9, v54
	v_fma_f32 v24, v34, v51, -v5
	s_waitcnt vmcnt(3)
	v_mul_f32_e32 v5, v10, v56
	s_waitcnt vmcnt(2)
	v_mul_f32_e32 v29, v45, v60
	v_fmac_f32_e32 v1, v9, v53
	v_fma_f32 v21, v41, v53, -v6
	v_mul_f32_e32 v6, v42, v56
	v_fma_f32 v22, v42, v55, -v5
	s_waitcnt lgkmcnt(3)
	v_mul_f32_e32 v5, v12, v60
	v_mul_f32_e32 v27, v33, v27
	;; [unrolled: 1-line block ×3, first 2 shown]
	s_waitcnt lgkmcnt(2)
	v_mul_f32_e32 v9, v16, v62
	v_mul_f32_e32 v18, v11, v58
	v_fma_f32 v30, v45, v59, -v5
	s_waitcnt vmcnt(1)
	v_mul_f32_e32 v45, v79, v66
	v_fmac_f32_e32 v6, v10, v55
	v_fma_f32 v34, v71, v61, -v9
	s_waitcnt vmcnt(0)
	v_mul_f32_e32 v5, v17, v68
	s_waitcnt lgkmcnt(1)
	v_mul_f32_e32 v9, v75, v70
	s_waitcnt lgkmcnt(0)
	v_mul_f32_e32 v10, v14, v66
	v_fmac_f32_e32 v45, v14, v65
	v_fmac_f32_e32 v27, v77, v26
	v_mul_f32_e32 v25, v44, v58
	v_fma_f32 v26, v44, v57, -v18
	v_mul_f32_e32 v41, v72, v68
	v_fma_f32 v42, v72, v67, -v5
	v_fma_f32 v44, v73, v69, -v9
	;; [unrolled: 1-line block ×3, first 2 shown]
	v_sub_f32_e32 v5, v49, v45
	v_mul_f32_e32 v9, v76, v64
	v_fmac_f32_e32 v23, v78, v51
	v_mul_f32_e32 v33, v71, v62
	v_fmac_f32_e32 v25, v11, v57
	v_fmac_f32_e32 v41, v17, v67
	v_mul_f32_e32 v51, v74, v64
	v_add_f32_e32 v10, v50, v53
	v_mul_f32_e32 v11, 0xbeb8f4ab, v5
	v_fma_f32 v54, v74, v63, -v9
	v_mul_f32_e32 v9, 0xbf2c7751, v5
	v_mul_f32_e32 v14, 0xbf65296c, v5
	;; [unrolled: 1-line block ×4, first 2 shown]
	v_fmac_f32_e32 v29, v12, v59
	v_fmac_f32_e32 v33, v16, v61
	;; [unrolled: 1-line block ×3, first 2 shown]
	v_fma_f32 v12, 0x3f6eb680, v10, -v11
	v_fma_f32 v16, 0x3f3d2fb0, v10, -v9
	;; [unrolled: 1-line block ×4, first 2 shown]
	v_mul_f32_e32 v55, 0xbf4c4adb, v5
	v_fma_f32 v56, 0xbe8c1d8e, v10, -v20
	v_mul_f32_e32 v57, 0xbf06c442, v5
	v_mul_f32_e32 v5, 0xbe3c28d5, v5
	v_fmac_f32_e32 v11, 0x3f6eb680, v10
	v_fmac_f32_e32 v9, 0x3f3d2fb0, v10
	;; [unrolled: 1-line block ×5, first 2 shown]
	v_fma_f32 v58, 0xbf1a4643, v10, -v55
	v_fmac_f32_e32 v55, 0xbf1a4643, v10
	v_fma_f32 v59, 0xbf59a7d5, v10, -v57
	v_fmac_f32_e32 v57, 0xbf59a7d5, v10
	;; [unrolled: 2-line block ×3, first 2 shown]
	v_add_f32_e32 v10, v13, v12
	v_add_f32_e32 v12, v13, v16
	;; [unrolled: 1-line block ×5, first 2 shown]
	v_sub_f32_e32 v56, v46, v51
	v_add_f32_e32 v61, v47, v54
	v_add_f32_e32 v11, v13, v11
	;; [unrolled: 1-line block ×4, first 2 shown]
	v_mul_f32_e32 v62, 0xbf2c7751, v56
	v_add_f32_e32 v17, v13, v17
	v_add_f32_e32 v20, v13, v20
	v_add_f32_e32 v58, v13, v58
	v_add_f32_e32 v55, v13, v55
	v_add_f32_e32 v59, v13, v59
	v_add_f32_e32 v57, v13, v57
	v_add_f32_e32 v60, v13, v60
	v_add_f32_e32 v63, v13, v5
	v_mul_f32_e32 v64, 0xbf7ee86f, v56
	v_fma_f32 v65, 0x3f3d2fb0, v61, -v62
	v_fmac_f32_e32 v62, 0x3f3d2fb0, v61
	v_add_f32_e32 v5, v13, v50
	v_mul_f32_e32 v13, 0xbf4c4adb, v56
	v_fma_f32 v66, 0x3dbcf732, v61, -v64
	v_add_f32_e32 v10, v65, v10
	v_add_f32_e32 v11, v62, v11
	v_fmac_f32_e32 v64, 0x3dbcf732, v61
	v_fma_f32 v62, 0xbf1a4643, v61, -v13
	v_mul_f32_e32 v65, 0xbe3c28d5, v56
	v_fmac_f32_e32 v13, 0xbf1a4643, v61
	v_mul_f32_e32 v48, v73, v70
	v_add_f32_e32 v9, v64, v9
	v_add_f32_e32 v16, v62, v16
	v_fma_f32 v64, 0xbf7ba420, v61, -v65
	v_add_f32_e32 v13, v13, v14
	v_mul_f32_e32 v14, 0x3f763a35, v56
	v_fmac_f32_e32 v48, v75, v69
	v_mul_f32_e32 v62, 0x3f06c442, v56
	v_fmac_f32_e32 v65, 0xbf7ba420, v61
	v_add_f32_e32 v18, v64, v18
	v_fma_f32 v64, 0xbe8c1d8e, v61, -v14
	v_add_f32_e32 v12, v66, v12
	v_fma_f32 v66, 0xbf59a7d5, v61, -v62
	v_fmac_f32_e32 v62, 0xbf59a7d5, v61
	v_add_f32_e32 v17, v65, v17
	v_mul_f32_e32 v65, 0x3f65296c, v56
	v_add_f32_e32 v58, v64, v58
	v_mul_f32_e32 v56, 0x3eb8f4ab, v56
	v_fmac_f32_e32 v14, 0xbe8c1d8e, v61
	v_sub_f32_e32 v64, v38, v48
	v_add_f32_e32 v52, v66, v52
	v_add_f32_e32 v20, v62, v20
	v_fma_f32 v62, 0x3ee437d1, v61, -v65
	v_fmac_f32_e32 v65, 0x3ee437d1, v61
	v_fma_f32 v66, 0x3f6eb680, v61, -v56
	v_fmac_f32_e32 v56, 0x3f6eb680, v61
	v_add_f32_e32 v14, v14, v55
	v_add_f32_e32 v55, v39, v44
	v_mul_f32_e32 v61, 0xbf65296c, v64
	v_add_f32_e32 v59, v62, v59
	v_add_f32_e32 v57, v65, v57
	v_mul_f32_e32 v62, 0xbf4c4adb, v64
	v_add_f32_e32 v56, v56, v63
	v_fma_f32 v65, 0x3ee437d1, v55, -v61
	v_fmac_f32_e32 v61, 0x3ee437d1, v55
	v_mul_f32_e32 v63, 0x3e3c28d5, v64
	v_add_f32_e32 v60, v66, v60
	v_fma_f32 v66, 0xbf1a4643, v55, -v62
	v_add_f32_e32 v10, v65, v10
	v_add_f32_e32 v11, v61, v11
	v_fmac_f32_e32 v62, 0xbf1a4643, v55
	v_fma_f32 v61, 0xbf7ba420, v55, -v63
	v_mul_f32_e32 v65, 0x3f763a35, v64
	v_fmac_f32_e32 v63, 0xbf7ba420, v55
	v_add_f32_e32 v12, v66, v12
	v_add_f32_e32 v9, v62, v9
	;; [unrolled: 1-line block ×3, first 2 shown]
	v_mul_f32_e32 v61, 0x3f2c7751, v64
	v_fma_f32 v62, 0xbe8c1d8e, v55, -v65
	v_add_f32_e32 v13, v63, v13
	v_mul_f32_e32 v63, 0xbeb8f4ab, v64
	v_fmac_f32_e32 v65, 0xbe8c1d8e, v55
	v_fma_f32 v66, 0x3f3d2fb0, v55, -v61
	v_add_f32_e32 v18, v62, v18
	v_fmac_f32_e32 v61, 0x3f3d2fb0, v55
	v_fma_f32 v62, 0x3f6eb680, v55, -v63
	v_add_f32_e32 v17, v65, v17
	v_mul_f32_e32 v65, 0xbf7ee86f, v64
	v_fmac_f32_e32 v63, 0x3f6eb680, v55
	v_add_f32_e32 v20, v61, v20
	v_add_f32_e32 v58, v62, v58
	v_mul_f32_e32 v61, 0xbf06c442, v64
	v_fma_f32 v62, 0x3dbcf732, v55, -v65
	v_sub_f32_e32 v64, v35, v41
	v_add_f32_e32 v52, v66, v52
	v_fmac_f32_e32 v65, 0x3dbcf732, v55
	v_fma_f32 v66, 0xbf59a7d5, v55, -v61
	v_fmac_f32_e32 v61, 0xbf59a7d5, v55
	v_add_f32_e32 v14, v63, v14
	v_add_f32_e32 v55, v36, v42
	v_mul_f32_e32 v63, 0xbf7ee86f, v64
	v_add_f32_e32 v59, v62, v59
	v_mul_f32_e32 v62, 0xbe3c28d5, v64
	v_add_f32_e32 v57, v65, v57
	v_add_f32_e32 v60, v66, v60
	v_fma_f32 v65, 0x3dbcf732, v55, -v63
	v_fmac_f32_e32 v63, 0x3dbcf732, v55
	v_add_f32_e32 v56, v61, v56
	v_mul_f32_e32 v61, 0x3f763a35, v64
	v_fma_f32 v66, 0xbf7ba420, v55, -v62
	v_fmac_f32_e32 v62, 0xbf7ba420, v55
	v_add_f32_e32 v10, v65, v10
	v_add_f32_e32 v11, v63, v11
	v_fma_f32 v63, 0xbe8c1d8e, v55, -v61
	v_mul_f32_e32 v65, 0x3eb8f4ab, v64
	v_fmac_f32_e32 v61, 0xbe8c1d8e, v55
	v_add_f32_e32 v9, v62, v9
	v_mul_f32_e32 v62, 0xbf65296c, v64
	v_add_f32_e32 v12, v66, v12
	v_add_f32_e32 v16, v63, v16
	v_fma_f32 v63, 0x3f6eb680, v55, -v65
	v_add_f32_e32 v13, v61, v13
	v_mul_f32_e32 v61, 0xbf06c442, v64
	v_fmac_f32_e32 v65, 0x3f6eb680, v55
	v_fma_f32 v66, 0x3ee437d1, v55, -v62
	v_fmac_f32_e32 v62, 0x3ee437d1, v55
	v_add_f32_e32 v18, v63, v18
	v_fma_f32 v63, 0xbf59a7d5, v55, -v61
	v_add_f32_e32 v17, v65, v17
	v_mul_f32_e32 v65, 0x3f4c4adb, v64
	v_add_f32_e32 v20, v62, v20
	v_mul_f32_e32 v62, 0x3f2c7751, v64
	v_fmac_f32_e32 v61, 0xbf59a7d5, v55
	v_sub_f32_e32 v64, v31, v33
	v_add_f32_e32 v52, v66, v52
	v_add_f32_e32 v58, v63, v58
	v_fma_f32 v63, 0xbf1a4643, v55, -v65
	v_fmac_f32_e32 v65, 0xbf1a4643, v55
	v_fma_f32 v66, 0x3f3d2fb0, v55, -v62
	v_fmac_f32_e32 v62, 0x3f3d2fb0, v55
	v_add_f32_e32 v14, v61, v14
	v_add_f32_e32 v55, v32, v34
	v_mul_f32_e32 v61, 0xbf763a35, v64
	v_add_f32_e32 v57, v65, v57
	v_add_f32_e32 v56, v62, v56
	v_mul_f32_e32 v62, 0x3f2c7751, v64
	v_add_f32_e32 v59, v63, v59
	v_fma_f32 v65, 0xbe8c1d8e, v55, -v61
	v_fmac_f32_e32 v61, 0xbe8c1d8e, v55
	v_mul_f32_e32 v63, 0x3f06c442, v64
	v_add_f32_e32 v60, v66, v60
	v_add_f32_e32 v5, v5, v47
	v_add_f32_e32 v10, v65, v10
	v_add_f32_e32 v11, v61, v11
	v_fma_f32 v61, 0x3f3d2fb0, v55, -v62
	v_fma_f32 v66, 0xbf59a7d5, v55, -v63
	v_fmac_f32_e32 v63, 0xbf59a7d5, v55
	v_mul_f32_e32 v65, 0xbf65296c, v64
	v_fmac_f32_e32 v62, 0x3f3d2fb0, v55
	v_add_f32_e32 v16, v61, v16
	v_mul_f32_e32 v61, 0xbe3c28d5, v64
	v_add_f32_e32 v12, v66, v12
	v_add_f32_e32 v9, v63, v9
	v_fma_f32 v63, 0x3ee437d1, v55, -v65
	v_add_f32_e32 v13, v62, v13
	v_mul_f32_e32 v62, 0x3f7ee86f, v64
	v_fmac_f32_e32 v65, 0x3ee437d1, v55
	v_fma_f32 v66, 0xbf7ba420, v55, -v61
	v_fmac_f32_e32 v61, 0xbf7ba420, v55
	v_add_f32_e32 v18, v63, v18
	v_fma_f32 v63, 0x3dbcf732, v55, -v62
	v_add_f32_e32 v17, v65, v17
	v_mul_f32_e32 v65, 0xbeb8f4ab, v64
	v_add_f32_e32 v20, v61, v20
	v_mul_f32_e32 v61, 0xbf4c4adb, v64
	v_fmac_f32_e32 v62, 0x3dbcf732, v55
	v_sub_f32_e32 v64, v27, v29
	v_add_f32_e32 v52, v66, v52
	v_add_f32_e32 v58, v63, v58
	v_fma_f32 v63, 0x3f6eb680, v55, -v65
	v_fmac_f32_e32 v65, 0x3f6eb680, v55
	v_fma_f32 v66, 0xbf1a4643, v55, -v61
	v_fmac_f32_e32 v61, 0xbf1a4643, v55
	v_add_f32_e32 v14, v62, v14
	v_add_f32_e32 v55, v28, v30
	v_mul_f32_e32 v62, 0xbf4c4adb, v64
	v_add_f32_e32 v57, v65, v57
	v_add_f32_e32 v56, v61, v56
	v_mul_f32_e32 v61, 0xbeb8f4ab, v64
	v_add_f32_e32 v59, v63, v59
	v_fma_f32 v65, 0xbf1a4643, v55, -v62
	v_fmac_f32_e32 v62, 0xbf1a4643, v55
	v_mul_f32_e32 v63, 0x3f763a35, v64
	v_add_f32_e32 v60, v66, v60
	v_add_f32_e32 v5, v5, v39
	v_add_f32_e32 v10, v65, v10
	v_add_f32_e32 v11, v62, v11
	v_fma_f32 v62, 0x3f6eb680, v55, -v61
	v_fma_f32 v66, 0xbe8c1d8e, v55, -v63
	v_fmac_f32_e32 v63, 0xbe8c1d8e, v55
	v_mul_f32_e32 v65, 0xbf06c442, v64
	v_fmac_f32_e32 v61, 0x3f6eb680, v55
	v_add_f32_e32 v16, v62, v16
	v_mul_f32_e32 v62, 0x3f7ee86f, v64
	v_add_f32_e32 v12, v66, v12
	v_add_f32_e32 v9, v63, v9
	v_fma_f32 v63, 0xbf59a7d5, v55, -v65
	v_add_f32_e32 v13, v61, v13
	v_mul_f32_e32 v61, 0xbf2c7751, v64
	v_fmac_f32_e32 v65, 0xbf59a7d5, v55
	v_fma_f32 v66, 0x3dbcf732, v55, -v62
	v_fmac_f32_e32 v62, 0x3dbcf732, v55
	v_add_f32_e32 v18, v63, v18
	v_fma_f32 v63, 0x3f3d2fb0, v55, -v61
	v_add_f32_e32 v17, v65, v17
	v_mul_f32_e32 v65, 0xbe3c28d5, v64
	v_add_f32_e32 v20, v62, v20
	v_mul_f32_e32 v62, 0x3f65296c, v64
	v_fmac_f32_e32 v61, 0x3f3d2fb0, v55
	v_sub_f32_e32 v64, v23, v25
	v_add_f32_e32 v52, v66, v52
	v_add_f32_e32 v58, v63, v58
	v_fma_f32 v63, 0xbf7ba420, v55, -v65
	v_fmac_f32_e32 v65, 0xbf7ba420, v55
	v_fma_f32 v66, 0x3ee437d1, v55, -v62
	v_fmac_f32_e32 v62, 0x3ee437d1, v55
	v_add_f32_e32 v14, v61, v14
	v_add_f32_e32 v55, v24, v26
	v_mul_f32_e32 v61, 0xbf06c442, v64
	v_add_f32_e32 v57, v65, v57
	v_add_f32_e32 v56, v62, v56
	v_mul_f32_e32 v62, 0xbf7ee86f, v64
	v_add_f32_e32 v59, v63, v59
	v_fma_f32 v65, 0xbf59a7d5, v55, -v61
	v_fmac_f32_e32 v61, 0xbf59a7d5, v55
	v_mul_f32_e32 v63, 0x3f65296c, v64
	v_add_f32_e32 v60, v66, v60
	v_add_f32_e32 v5, v5, v36
	v_add_f32_e32 v10, v65, v10
	v_add_f32_e32 v11, v61, v11
	v_fma_f32 v61, 0x3dbcf732, v55, -v62
	v_fma_f32 v66, 0x3ee437d1, v55, -v63
	v_fmac_f32_e32 v63, 0x3ee437d1, v55
	v_fmac_f32_e32 v62, 0x3dbcf732, v55
	v_mul_f32_e32 v65, 0x3f4c4adb, v64
	v_add_f32_e32 v16, v61, v16
	v_mul_f32_e32 v61, 0xbeb8f4ab, v64
	v_add_f32_e32 v12, v66, v12
	v_add_f32_e32 v9, v63, v9
	;; [unrolled: 1-line block ×3, first 2 shown]
	v_fma_f32 v62, 0xbf1a4643, v55, -v65
	v_mul_f32_e32 v63, 0xbe3c28d5, v64
	v_fmac_f32_e32 v65, 0xbf1a4643, v55
	v_fma_f32 v66, 0x3f6eb680, v55, -v61
	v_fmac_f32_e32 v61, 0x3f6eb680, v55
	v_add_f32_e32 v5, v5, v32
	v_add_f32_e32 v18, v62, v18
	v_fma_f32 v62, 0xbf7ba420, v55, -v63
	v_add_f32_e32 v17, v65, v17
	v_add_f32_e32 v65, v66, v52
	;; [unrolled: 1-line block ×3, first 2 shown]
	v_mul_f32_e32 v52, 0x3f2c7751, v64
	v_mul_f32_e32 v61, 0xbf763a35, v64
	v_add_f32_e32 v5, v5, v28
	v_add_f32_e32 v58, v62, v58
	v_fmac_f32_e32 v63, 0xbf7ba420, v55
	v_fma_f32 v62, 0x3f3d2fb0, v55, -v52
	v_fmac_f32_e32 v52, 0x3f3d2fb0, v55
	v_fma_f32 v64, 0xbe8c1d8e, v55, -v61
	v_fmac_f32_e32 v61, 0xbe8c1d8e, v55
	v_sub_f32_e32 v55, v1, v6
	v_add_f32_e32 v5, v5, v24
	v_add_f32_e32 v14, v63, v14
	;; [unrolled: 1-line block ×4, first 2 shown]
	v_mul_f32_e32 v63, 0xbe3c28d5, v55
	v_add_f32_e32 v5, v5, v21
	v_add_f32_e32 v57, v52, v57
	;; [unrolled: 1-line block ×4, first 2 shown]
	v_fma_f32 v52, 0xbf7ba420, v62, -v63
	v_fmac_f32_e32 v63, 0xbf7ba420, v62
	v_mul_f32_e32 v61, 0x3eb8f4ab, v55
	v_mul_f32_e32 v64, 0xbf06c442, v55
	v_add_f32_e32 v5, v5, v22
	v_add_f32_e32 v10, v52, v10
	;; [unrolled: 1-line block ×3, first 2 shown]
	v_fma_f32 v11, 0x3f6eb680, v62, -v61
	v_fma_f32 v63, 0xbf59a7d5, v62, -v64
	v_mul_f32_e32 v66, 0x3f2c7751, v55
	v_add_f32_e32 v5, v5, v26
	v_fmac_f32_e32 v64, 0xbf59a7d5, v62
	v_add_f32_e32 v11, v11, v12
	v_add_f32_e32 v12, v63, v16
	v_fma_f32 v16, 0x3f3d2fb0, v62, -v66
	v_add_f32_e32 v5, v5, v30
	v_mul_f32_e32 v63, 0xbf4c4adb, v55
	v_fmac_f32_e32 v66, 0x3f3d2fb0, v62
	v_add_f32_e32 v13, v64, v13
	v_add_f32_e32 v16, v16, v18
	v_mul_f32_e32 v18, 0x3f65296c, v55
	v_add_f32_e32 v5, v5, v34
	v_fma_f32 v64, 0xbf1a4643, v62, -v63
	v_add_f32_e32 v17, v66, v17
	v_fmac_f32_e32 v63, 0xbf1a4643, v62
	v_fma_f32 v66, 0x3ee437d1, v62, -v18
	v_add_f32_e32 v5, v5, v42
	v_fmac_f32_e32 v18, 0x3ee437d1, v62
	v_add_f32_e32 v64, v64, v65
	v_add_f32_e32 v20, v63, v20
	;; [unrolled: 1-line block ×3, first 2 shown]
	v_mul_f32_e32 v63, 0xbf763a35, v55
	v_mov_b32_e32 v65, 0x484
	v_mov_b32_e32 v66, 2
	v_add_f32_e32 v5, v5, v44
	v_add_f32_e32 v14, v18, v14
	v_mul_f32_e32 v18, 0x3f7ee86f, v55
	v_fma_f32 v55, 0xbe8c1d8e, v62, -v63
	v_mul_u32_u24_sdwa v7, v7, v65 dst_sel:DWORD dst_unused:UNUSED_PAD src0_sel:WORD_0 src1_sel:DWORD
	v_lshlrev_b32_sdwa v8, v66, v8 dst_sel:DWORD dst_unused:UNUSED_PAD src0_sel:DWORD src1_sel:BYTE_0
	v_add_f32_e32 v5, v5, v54
	v_fmac_f32_e32 v61, 0x3f6eb680, v62
	v_fma_f32 v67, 0x3dbcf732, v62, -v18
	v_fmac_f32_e32 v18, 0x3dbcf732, v62
	v_fmac_f32_e32 v63, 0xbe8c1d8e, v62
	v_add_f32_e32 v59, v55, v59
	v_add3_u32 v55, 0, v7, v8
	v_add_f32_e32 v7, v5, v53
	v_add_f32_e32 v5, v61, v9
	v_add_nc_u32_e32 v9, 0x200, v43
	v_add_f32_e32 v60, v67, v60
	v_add_f32_e32 v18, v18, v56
	;; [unrolled: 1-line block ×3, first 2 shown]
	s_barrier
	buffer_gl0_inv
	ds_write2_b32 v55, v7, v10 offset1:17
	ds_write2_b32 v55, v11, v12 offset0:34 offset1:51
	ds_write2_b32 v55, v16, v64 offset0:68 offset1:85
	;; [unrolled: 1-line block ×7, first 2 shown]
	ds_write_b32 v55, v52 offset:1088
	s_waitcnt lgkmcnt(0)
	s_barrier
	buffer_gl0_inv
	ds_read2_b32 v[7:8], v43 offset1:51
	ds_read2_b32 v[17:18], v9 offset0:76 offset1:161
	ds_read2_b32 v[11:12], v15 offset0:66 offset1:117
	;; [unrolled: 1-line block ×6, first 2 shown]
	ds_read_b32 v43, v43 offset:3128
	s_and_saveexec_b32 s1, s0
	s_cbranch_execz .LBB0_13
; %bb.12:
	ds_read_b32 v5, v40 offset:1020
	ds_read_b32 v52, v40 offset:2176
	;; [unrolled: 1-line block ×3, first 2 shown]
.LBB0_13:
	s_or_b32 exec_lo, exec_lo, s1
	v_add_f32_e32 v56, v4, v49
	v_sub_f32_e32 v50, v50, v53
	v_add_f32_e32 v53, v46, v51
	v_add_f32_e32 v49, v49, v45
	v_sub_f32_e32 v47, v47, v54
	v_add_f32_e32 v46, v56, v46
	v_mul_f32_e32 v54, 0xbeb8f4ab, v50
	v_mul_f32_e32 v56, 0xbf2c7751, v50
	;; [unrolled: 1-line block ×4, first 2 shown]
	v_add_f32_e32 v46, v46, v38
	v_mul_f32_e32 v59, 0xbf763a35, v50
	v_mul_f32_e32 v60, 0xbf4c4adb, v50
	;; [unrolled: 1-line block ×4, first 2 shown]
	v_add_f32_e32 v46, v46, v35
	v_mul_f32_e32 v62, 0xbf2c7751, v47
	v_mul_f32_e32 v63, 0xbf7ee86f, v47
	v_fmamk_f32 v67, v49, 0x3f6eb680, v54
	v_fma_f32 v54, 0x3f6eb680, v49, -v54
	v_add_f32_e32 v46, v46, v31
	v_fmamk_f32 v68, v49, 0x3f3d2fb0, v56
	v_fma_f32 v56, 0x3f3d2fb0, v49, -v56
	v_mul_f32_e32 v65, 0xbe3c28d5, v47
	v_mul_f32_e32 v66, 0x3f06c442, v47
	v_add_f32_e32 v46, v46, v27
	v_fmamk_f32 v69, v49, 0x3ee437d1, v57
	v_fma_f32 v57, 0x3ee437d1, v49, -v57
	v_fmamk_f32 v70, v49, 0x3dbcf732, v58
	v_fma_f32 v58, 0x3dbcf732, v49, -v58
	v_add_f32_e32 v46, v46, v23
	v_fmamk_f32 v71, v49, 0xbe8c1d8e, v59
	v_fma_f32 v59, 0xbe8c1d8e, v49, -v59
	v_fmamk_f32 v72, v49, 0xbf1a4643, v60
	v_fma_f32 v60, 0xbf1a4643, v49, -v60
	;; [unrolled: 5-line block ×4, first 2 shown]
	v_add_f32_e32 v46, v46, v25
	v_add_f32_e32 v67, v4, v67
	;; [unrolled: 1-line block ×24, first 2 shown]
	v_fma_f32 v62, 0xbf7ba420, v53, -v65
	v_add_f32_e32 v46, v46, v51
	v_mul_f32_e32 v63, 0x3f763a35, v47
	v_mul_f32_e32 v64, 0xbf4c4adb, v47
	v_sub_f32_e32 v39, v39, v44
	v_add_f32_e32 v58, v62, v58
	v_add_f32_e32 v45, v46, v45
	v_fmamk_f32 v46, v53, 0xbf7ba420, v65
	v_fma_f32 v65, 0xbf59a7d5, v53, -v66
	v_fmamk_f32 v62, v53, 0xbe8c1d8e, v63
	v_fma_f32 v63, 0xbe8c1d8e, v53, -v63
	;; [unrolled: 2-line block ×3, first 2 shown]
	v_add_f32_e32 v59, v65, v59
	v_mul_f32_e32 v65, 0x3f65296c, v47
	v_mul_f32_e32 v47, 0x3eb8f4ab, v47
	v_add_f32_e32 v60, v63, v60
	v_add_f32_e32 v38, v38, v48
	v_mul_f32_e32 v48, 0xbf65296c, v39
	v_fmamk_f32 v44, v53, 0x3ee437d1, v65
	v_fma_f32 v63, 0x3ee437d1, v53, -v65
	v_fmamk_f32 v65, v53, 0x3f6eb680, v47
	v_fma_f32 v47, 0x3f6eb680, v53, -v47
	v_add_f32_e32 v57, v64, v57
	v_fmamk_f32 v64, v53, 0xbf59a7d5, v66
	v_add_f32_e32 v53, v63, v61
	v_add_f32_e32 v61, v65, v74
	v_fmamk_f32 v63, v38, 0x3ee437d1, v48
	v_mul_f32_e32 v65, 0xbf4c4adb, v39
	v_add_f32_e32 v4, v47, v4
	v_fma_f32 v47, 0x3ee437d1, v38, -v48
	v_mul_f32_e32 v48, 0x3e3c28d5, v39
	v_add_f32_e32 v51, v75, v68
	v_add_f32_e32 v56, v76, v69
	;; [unrolled: 1-line block ×3, first 2 shown]
	v_fmamk_f32 v63, v38, 0xbf1a4643, v65
	v_fma_f32 v65, 0xbf1a4643, v38, -v65
	v_add_f32_e32 v47, v47, v50
	v_fmamk_f32 v50, v38, 0xbf7ba420, v48
	v_mul_f32_e32 v66, 0x3f763a35, v39
	v_fma_f32 v48, 0xbf7ba420, v38, -v48
	v_add_f32_e32 v46, v46, v70
	v_add_f32_e32 v51, v63, v51
	;; [unrolled: 1-line block ×4, first 2 shown]
	v_fmamk_f32 v56, v38, 0xbe8c1d8e, v66
	v_mul_f32_e32 v63, 0x3f2c7751, v39
	v_fma_f32 v65, 0xbe8c1d8e, v38, -v66
	v_add_f32_e32 v48, v48, v57
	v_mul_f32_e32 v57, 0xbeb8f4ab, v39
	v_add_f32_e32 v46, v56, v46
	v_fmamk_f32 v56, v38, 0x3f3d2fb0, v63
	v_add_f32_e32 v58, v65, v58
	v_fma_f32 v63, 0x3f3d2fb0, v38, -v63
	v_fmamk_f32 v65, v38, 0x3f6eb680, v57
	v_mul_f32_e32 v66, 0xbf7ee86f, v39
	v_fma_f32 v57, 0x3f6eb680, v38, -v57
	v_mul_f32_e32 v39, 0xbf06c442, v39
	v_sub_f32_e32 v36, v36, v42
	v_add_f32_e32 v59, v63, v59
	v_fmamk_f32 v63, v38, 0x3dbcf732, v66
	v_add_f32_e32 v57, v57, v60
	v_fma_f32 v42, 0x3dbcf732, v38, -v66
	v_fmamk_f32 v60, v38, 0xbf59a7d5, v39
	v_add_f32_e32 v35, v35, v41
	v_mul_f32_e32 v41, 0xbf7ee86f, v36
	v_fma_f32 v38, 0xbf59a7d5, v38, -v39
	v_add_f32_e32 v42, v42, v53
	v_add_f32_e32 v39, v60, v61
	v_mul_f32_e32 v53, 0xbe3c28d5, v36
	v_fmamk_f32 v60, v35, 0x3dbcf732, v41
	v_fma_f32 v41, 0x3dbcf732, v35, -v41
	v_add_f32_e32 v4, v38, v4
	v_mul_f32_e32 v38, 0x3f763a35, v36
	v_fmamk_f32 v61, v35, 0xbf7ba420, v53
	v_add_f32_e32 v49, v60, v49
	v_add_f32_e32 v41, v41, v47
	v_fma_f32 v47, 0xbf7ba420, v35, -v53
	v_fmamk_f32 v53, v35, 0xbe8c1d8e, v38
	v_mul_f32_e32 v60, 0x3eb8f4ab, v36
	v_fma_f32 v38, 0xbe8c1d8e, v35, -v38
	v_add_f32_e32 v51, v61, v51
	v_add_f32_e32 v47, v47, v54
	;; [unrolled: 1-line block ×3, first 2 shown]
	v_mul_f32_e32 v53, 0xbf65296c, v36
	v_fmamk_f32 v54, v35, 0x3f6eb680, v60
	v_add_f32_e32 v38, v38, v48
	v_fma_f32 v48, 0x3f6eb680, v35, -v60
	v_mul_f32_e32 v60, 0xbf06c442, v36
	v_fmamk_f32 v61, v35, 0x3ee437d1, v53
	v_fma_f32 v53, 0x3ee437d1, v35, -v53
	v_add_f32_e32 v44, v44, v73
	v_add_f32_e32 v48, v48, v58
	v_fma_f32 v58, 0xbf59a7d5, v35, -v60
	v_sub_f32_e32 v32, v32, v34
	v_add_f32_e32 v53, v53, v59
	v_mul_f32_e32 v59, 0x3f4c4adb, v36
	v_mul_f32_e32 v36, 0x3f2c7751, v36
	v_add_f32_e32 v44, v63, v44
	v_add_f32_e32 v46, v54, v46
	v_fmamk_f32 v54, v35, 0xbf59a7d5, v60
	v_add_f32_e32 v57, v58, v57
	v_fmamk_f32 v34, v35, 0xbf1a4643, v59
	v_fma_f32 v58, 0xbf1a4643, v35, -v59
	v_fmamk_f32 v59, v35, 0x3f3d2fb0, v36
	v_add_f32_e32 v31, v31, v33
	v_mul_f32_e32 v33, 0xbf763a35, v32
	v_fma_f32 v35, 0x3f3d2fb0, v35, -v36
	v_add_f32_e32 v34, v34, v44
	v_add_f32_e32 v36, v58, v42
	v_mul_f32_e32 v44, 0x3f06c442, v32
	v_fmamk_f32 v42, v31, 0xbe8c1d8e, v33
	v_add_f32_e32 v4, v35, v4
	v_fma_f32 v33, 0xbe8c1d8e, v31, -v33
	v_mul_f32_e32 v35, 0x3f2c7751, v32
	v_mul_f32_e32 v58, 0xbf65296c, v32
	v_add_f32_e32 v42, v42, v49
	v_fmamk_f32 v49, v31, 0xbf59a7d5, v44
	v_fma_f32 v44, 0xbf59a7d5, v31, -v44
	v_add_f32_e32 v33, v33, v41
	v_fmamk_f32 v41, v31, 0x3f3d2fb0, v35
	v_fma_f32 v35, 0x3f3d2fb0, v31, -v35
	v_add_f32_e32 v49, v49, v51
	v_add_f32_e32 v44, v44, v47
	v_fmamk_f32 v47, v31, 0x3ee437d1, v58
	v_add_f32_e32 v41, v41, v50
	v_mul_f32_e32 v50, 0xbe3c28d5, v32
	v_fma_f32 v51, 0x3ee437d1, v31, -v58
	v_mul_f32_e32 v58, 0xbeb8f4ab, v32
	v_add_f32_e32 v46, v47, v46
	v_add_f32_e32 v35, v35, v38
	v_fmamk_f32 v47, v31, 0xbf7ba420, v50
	v_fma_f32 v50, 0xbf7ba420, v31, -v50
	v_mul_f32_e32 v38, 0x3f7ee86f, v32
	v_mul_f32_e32 v32, 0xbf4c4adb, v32
	v_sub_f32_e32 v28, v28, v30
	v_fma_f32 v30, 0x3f6eb680, v31, -v58
	v_add_f32_e32 v50, v50, v53
	v_fmamk_f32 v53, v31, 0x3f6eb680, v58
	v_add_f32_e32 v39, v59, v39
	v_add_f32_e32 v48, v51, v48
	v_fmamk_f32 v51, v31, 0x3dbcf732, v38
	v_fma_f32 v38, 0x3dbcf732, v31, -v38
	v_add_f32_e32 v34, v53, v34
	v_fmamk_f32 v53, v31, 0xbf1a4643, v32
	v_add_f32_e32 v27, v27, v29
	v_mul_f32_e32 v29, 0xbf4c4adb, v28
	v_add_f32_e32 v30, v30, v36
	v_fma_f32 v31, 0xbf1a4643, v31, -v32
	v_mul_f32_e32 v36, 0x3f763a35, v28
	v_add_f32_e32 v32, v53, v39
	v_fmamk_f32 v39, v27, 0xbf1a4643, v29
	v_fma_f32 v29, 0xbf1a4643, v27, -v29
	v_add_f32_e32 v4, v31, v4
	v_mul_f32_e32 v31, 0xbeb8f4ab, v28
	v_fmamk_f32 v53, v27, 0xbe8c1d8e, v36
	v_add_f32_e32 v39, v39, v42
	v_add_f32_e32 v29, v29, v33
	v_fma_f32 v33, 0xbe8c1d8e, v27, -v36
	v_fmamk_f32 v36, v27, 0x3f6eb680, v31
	v_add_f32_e32 v42, v53, v49
	v_mul_f32_e32 v49, 0xbf06c442, v28
	v_fma_f32 v31, 0x3f6eb680, v27, -v31
	v_add_f32_e32 v33, v33, v44
	v_add_f32_e32 v38, v38, v57
	;; [unrolled: 1-line block ×3, first 2 shown]
	v_fmamk_f32 v44, v27, 0xbf59a7d5, v49
	v_add_f32_e32 v31, v31, v35
	v_fma_f32 v35, 0xbf59a7d5, v27, -v49
	v_mul_f32_e32 v49, 0xbf2c7751, v28
	v_mul_f32_e32 v41, 0x3f7ee86f, v28
	v_add_f32_e32 v44, v44, v46
	v_sub_f32_e32 v24, v24, v26
	v_add_f32_e32 v35, v35, v48
	v_fmamk_f32 v46, v27, 0x3f3d2fb0, v49
	v_fma_f32 v48, 0x3f3d2fb0, v27, -v49
	v_mul_f32_e32 v49, 0xbe3c28d5, v28
	v_mul_f32_e32 v28, 0x3f65296c, v28
	v_add_f32_e32 v62, v62, v72
	v_fmamk_f32 v53, v27, 0x3dbcf732, v41
	v_fma_f32 v41, 0x3dbcf732, v27, -v41
	v_add_f32_e32 v38, v48, v38
	v_fmamk_f32 v26, v27, 0xbf7ba420, v49
	v_fma_f32 v48, 0xbf7ba420, v27, -v49
	v_fmamk_f32 v49, v27, 0x3ee437d1, v28
	v_add_f32_e32 v23, v23, v25
	v_mul_f32_e32 v25, 0xbf06c442, v24
	v_fma_f32 v27, 0x3ee437d1, v27, -v28
	v_add_f32_e32 v62, v65, v62
	v_add_f32_e32 v26, v26, v34
	;; [unrolled: 1-line block ×4, first 2 shown]
	v_fmamk_f32 v32, v23, 0xbf59a7d5, v25
	v_mul_f32_e32 v34, 0x3f65296c, v24
	v_add_f32_e32 v4, v27, v4
	v_fma_f32 v25, 0xbf59a7d5, v23, -v25
	v_mul_f32_e32 v27, 0xbf7ee86f, v24
	v_add_f32_e32 v54, v54, v62
	v_add_f32_e32 v32, v32, v39
	v_fmamk_f32 v39, v23, 0x3ee437d1, v34
	v_fma_f32 v34, 0x3ee437d1, v23, -v34
	v_add_f32_e32 v25, v25, v29
	v_fmamk_f32 v29, v23, 0x3dbcf732, v27
	v_mul_f32_e32 v48, 0x3f4c4adb, v24
	v_fma_f32 v27, 0x3dbcf732, v23, -v27
	v_add_f32_e32 v51, v51, v54
	v_add_f32_e32 v39, v39, v42
	;; [unrolled: 1-line block ×4, first 2 shown]
	v_fmamk_f32 v34, v23, 0xbf1a4643, v48
	v_mul_f32_e32 v36, 0xbeb8f4ab, v24
	v_fma_f32 v42, 0xbf1a4643, v23, -v48
	v_add_f32_e32 v27, v27, v31
	v_mul_f32_e32 v31, 0xbe3c28d5, v24
	v_add_f32_e32 v64, v64, v71
	v_add_f32_e32 v41, v41, v50
	;; [unrolled: 1-line block ×4, first 2 shown]
	v_fmamk_f32 v44, v23, 0x3f6eb680, v36
	v_add_f32_e32 v35, v42, v35
	v_fma_f32 v36, 0x3f6eb680, v23, -v36
	v_fmamk_f32 v42, v23, 0xbf7ba420, v31
	v_mul_f32_e32 v48, 0x3f2c7751, v24
	v_fma_f32 v31, 0xbf7ba420, v23, -v31
	v_mul_f32_e32 v24, 0xbf763a35, v24
	v_sub_f32_e32 v21, v21, v22
	v_add_f32_e32 v56, v56, v64
	v_add_f32_e32 v36, v36, v41
	v_add_f32_e32 v41, v42, v46
	v_fmamk_f32 v42, v23, 0x3f3d2fb0, v48
	v_add_f32_e32 v31, v31, v38
	v_fma_f32 v22, 0x3f3d2fb0, v23, -v48
	v_fmamk_f32 v38, v23, 0xbe8c1d8e, v24
	v_add_f32_e32 v1, v1, v6
	v_mul_f32_e32 v6, 0xbe3c28d5, v21
	v_fma_f32 v23, 0xbe8c1d8e, v23, -v24
	v_add_f32_e32 v56, v61, v56
	v_add_f32_e32 v24, v38, v30
	;; [unrolled: 1-line block ×3, first 2 shown]
	v_fmamk_f32 v30, v1, 0xbf7ba420, v6
	v_fma_f32 v6, 0xbf7ba420, v1, -v6
	v_add_f32_e32 v4, v23, v4
	v_mul_f32_e32 v23, 0xbf06c442, v21
	v_add_f32_e32 v47, v47, v56
	v_mul_f32_e32 v28, 0x3eb8f4ab, v21
	v_add_f32_e32 v38, v6, v25
	v_add_f32_e32 v26, v42, v26
	v_fmamk_f32 v25, v1, 0xbf59a7d5, v23
	v_add_f32_e32 v47, v53, v47
	v_fmamk_f32 v42, v1, 0x3f6eb680, v28
	v_add_f32_e32 v30, v30, v32
	v_mul_f32_e32 v32, 0x3f2c7751, v21
	v_fma_f32 v23, 0xbf59a7d5, v1, -v23
	v_add_f32_e32 v25, v25, v29
	v_mul_f32_e32 v29, 0xbf4c4adb, v21
	v_fma_f32 v6, 0x3f6eb680, v1, -v28
	v_add_f32_e32 v44, v44, v47
	v_add_f32_e32 v28, v42, v39
	;; [unrolled: 1-line block ×3, first 2 shown]
	v_fma_f32 v27, 0x3f3d2fb0, v1, -v32
	v_fmamk_f32 v39, v1, 0xbf1a4643, v29
	v_add_f32_e32 v6, v6, v33
	v_fmamk_f32 v33, v1, 0x3f3d2fb0, v32
	v_mul_f32_e32 v32, 0x3f65296c, v21
	v_fma_f32 v29, 0xbf1a4643, v1, -v29
	v_add_f32_e32 v27, v27, v35
	v_add_f32_e32 v35, v39, v44
	v_mul_f32_e32 v39, 0xbf763a35, v21
	v_add_f32_e32 v33, v33, v34
	v_fmamk_f32 v34, v1, 0x3ee437d1, v32
	v_mul_f32_e32 v21, 0x3f7ee86f, v21
	v_add_f32_e32 v29, v29, v36
	v_fmamk_f32 v36, v1, 0xbe8c1d8e, v39
	v_fma_f32 v32, 0x3ee437d1, v1, -v32
	v_add_f32_e32 v34, v34, v41
	v_fma_f32 v39, 0xbe8c1d8e, v1, -v39
	v_fmamk_f32 v41, v1, 0x3dbcf732, v21
	v_fma_f32 v1, 0x3dbcf732, v1, -v21
	v_add_f32_e32 v26, v36, v26
	v_add_f32_e32 v21, v32, v31
	;; [unrolled: 1-line block ×5, first 2 shown]
	s_waitcnt lgkmcnt(0)
	s_barrier
	buffer_gl0_inv
	ds_write2_b32 v55, v45, v30 offset1:17
	ds_write2_b32 v55, v28, v25 offset0:34 offset1:51
	ds_write2_b32 v55, v33, v35 offset0:68 offset1:85
	;; [unrolled: 1-line block ×7, first 2 shown]
	ds_write_b32 v55, v38 offset:1088
	v_add_nc_u32_e32 v1, 0x200, v40
	v_add_nc_u32_e32 v4, 0x800, v40
	;; [unrolled: 1-line block ×3, first 2 shown]
	s_waitcnt lgkmcnt(0)
	s_barrier
	buffer_gl0_inv
	ds_read2_b32 v[21:22], v40 offset1:51
	ds_read2_b32 v[33:34], v1 offset0:76 offset1:161
	ds_read2_b32 v[27:28], v4 offset0:66 offset1:117
	;; [unrolled: 1-line block ×6, first 2 shown]
	ds_read_b32 v41, v40 offset:3128
                                        ; implicit-def: $vgpr39
	s_and_saveexec_b32 s1, s0
	s_cbranch_execz .LBB0_15
; %bb.14:
	ds_read_b32 v6, v40 offset:1020
	ds_read_b32 v38, v40 offset:2176
	ds_read_b32 v39, v40 offset:3332
.LBB0_15:
	s_or_b32 exec_lo, exec_lo, s1
	s_and_saveexec_b32 s1, vcc_lo
	s_cbranch_execz .LBB0_18
; %bb.16:
	v_add_nc_u32_e32 v1, 0xcc, v0
	v_mov_b32_e32 v24, 0
	v_lshlrev_b32_e32 v61, 1, v0
	v_lshlrev_b32_e32 v23, 1, v1
	v_mov_b32_e32 v62, v24
	v_lshlrev_b64 v[44:45], 3, v[23:24]
	v_add_nc_u32_e32 v23, 0x132, v61
	v_lshlrev_b64 v[46:47], 3, v[61:62]
	v_lshlrev_b64 v[48:49], 3, v[23:24]
	v_add_co_u32 v4, vcc_lo, s8, v44
	v_add_co_ci_u32_e32 v23, vcc_lo, s9, v45, vcc_lo
	v_add_co_u32 v40, vcc_lo, s8, v46
	v_add_co_ci_u32_e32 v42, vcc_lo, s9, v47, vcc_lo
	;; [unrolled: 2-line block ×3, first 2 shown]
	v_add_co_u32 v50, vcc_lo, 0x800, v40
	v_add_nc_u32_e32 v23, 0xcc, v61
	v_add_co_ci_u32_e32 v51, vcc_lo, 0, v42, vcc_lo
	v_add_co_u32 v4, vcc_lo, s8, v48
	v_add_co_ci_u32_e32 v40, vcc_lo, s9, v49, vcc_lo
	v_lshlrev_b64 v[57:58], 3, v[23:24]
	v_add_co_u32 v53, vcc_lo, 0x800, v4
	v_add_co_ci_u32_e32 v54, vcc_lo, 0, v40, vcc_lo
	s_clause 0x1
	global_load_dwordx4 v[44:47], v[44:45], off offset:128
	global_load_dwordx4 v[48:51], v[50:51], off offset:128
	v_add_co_u32 v4, vcc_lo, s8, v57
	v_add_co_ci_u32_e32 v23, vcc_lo, s9, v58, vcc_lo
	global_load_dwordx4 v[53:56], v[53:54], off offset:128
	v_add_co_u32 v57, vcc_lo, 0x800, v4
	v_add_co_ci_u32_e32 v58, vcc_lo, 0, v23, vcc_lo
	v_add_nc_u32_e32 v23, 0x66, v61
	global_load_dwordx4 v[57:60], v[57:58], off offset:128
	v_lshlrev_b64 v[61:62], 3, v[23:24]
	v_add_co_u32 v4, vcc_lo, s8, v61
	v_add_co_ci_u32_e32 v23, vcc_lo, s9, v62, vcc_lo
	v_add_co_u32 v61, vcc_lo, 0x800, v4
	v_add_co_ci_u32_e32 v62, vcc_lo, 0, v23, vcc_lo
	v_mul_hi_u32 v4, 0xe2c4a689, v1
	v_mov_b32_e32 v1, v24
	v_add_co_u32 v2, vcc_lo, s2, v2
	global_load_dwordx4 v[61:64], v[61:62], off offset:128
	v_add_co_ci_u32_e32 v3, vcc_lo, s3, v3, vcc_lo
	v_lshlrev_b64 v[65:66], 3, v[0:1]
	v_lshrrev_b32_e32 v1, 8, v4
	v_mul_u32_u24_e32 v23, 0x242, v1
	v_add_co_u32 v1, vcc_lo, v2, v65
	v_add_co_ci_u32_e32 v2, vcc_lo, v3, v66, vcc_lo
	v_lshlrev_b64 v[3:4], 3, v[23:24]
	v_add_co_u32 v65, vcc_lo, 0x800, v1
	v_add_co_ci_u32_e32 v66, vcc_lo, 0, v2, vcc_lo
	v_add_co_u32 v67, vcc_lo, v1, v3
	v_add_co_ci_u32_e32 v68, vcc_lo, v2, v4, vcc_lo
	;; [unrolled: 2-line block ×5, first 2 shown]
	s_waitcnt vmcnt(4) lgkmcnt(1)
	v_mul_f32_e32 v23, v36, v45
	s_waitcnt lgkmcnt(0)
	v_mul_f32_e32 v40, v41, v47
	v_mul_f32_e32 v42, v20, v45
	v_mul_f32_e32 v45, v43, v47
	s_waitcnt vmcnt(3)
	v_mul_f32_e32 v47, v34, v49
	v_mul_f32_e32 v73, v27, v51
	;; [unrolled: 1-line block ×4, first 2 shown]
	v_fma_f32 v20, v20, v44, -v23
	v_fma_f32 v23, v43, v46, -v40
	v_fmac_f32_e32 v42, v36, v44
	v_fmac_f32_e32 v45, v41, v46
	s_waitcnt vmcnt(2)
	v_mul_f32_e32 v40, v32, v56
	v_mul_f32_e32 v41, v19, v54
	;; [unrolled: 1-line block ×4, first 2 shown]
	v_fma_f32 v18, v18, v48, -v47
	v_fma_f32 v11, v11, v50, -v73
	v_fmac_f32_e32 v49, v34, v48
	v_fmac_f32_e32 v51, v27, v50
	v_add_f32_e32 v34, v42, v45
	v_add_f32_e32 v44, v33, v42
	;; [unrolled: 1-line block ×4, first 2 shown]
	v_fma_f32 v16, v16, v55, -v40
	v_fmac_f32_e32 v41, v35, v53
	v_fmac_f32_e32 v43, v32, v55
	s_waitcnt vmcnt(1)
	v_mul_f32_e32 v32, v30, v58
	v_mul_f32_e32 v35, v31, v60
	;; [unrolled: 1-line block ×4, first 2 shown]
	v_fma_f32 v36, v19, v53, -v36
	v_sub_f32_e32 v27, v20, v23
	v_sub_f32_e32 v42, v42, v45
	;; [unrolled: 1-line block ×3, first 2 shown]
	v_add_f32_e32 v53, v49, v51
	v_add_f32_e32 v54, v18, v11
	v_sub_f32_e32 v55, v49, v51
	v_add_f32_e32 v49, v21, v49
	v_add_f32_e32 v56, v7, v18
	v_fma_f32 v18, -0.5, v34, v33
	v_add_f32_e32 v20, v44, v45
	v_fma_f32 v17, -0.5, v46, v17
	v_add_f32_e32 v19, v47, v23
	v_add_f32_e32 v44, v26, v41
	v_fma_f32 v46, v14, v57, -v32
	v_fma_f32 v47, v15, v59, -v35
	v_fmac_f32_e32 v40, v30, v57
	v_fmac_f32_e32 v48, v31, v59
	s_waitcnt vmcnt(0)
	v_mul_f32_e32 v35, v29, v62
	v_mul_f32_e32 v57, v28, v64
	v_mul_f32_e32 v58, v13, v62
	v_mul_f32_e32 v59, v12, v64
	v_sub_f32_e32 v23, v36, v16
	v_add_f32_e32 v34, v41, v43
	v_add_f32_e32 v45, v36, v16
	;; [unrolled: 1-line block ×3, first 2 shown]
	v_sub_f32_e32 v41, v41, v43
	v_fma_f32 v15, -0.5, v53, v21
	v_add_f32_e32 v31, v49, v51
	v_add_f32_e32 v30, v56, v11
	v_fmamk_f32 v33, v27, 0x3f5db3d7, v18
	v_fmac_f32_e32 v18, 0xbf5db3d7, v27
	v_fmamk_f32 v32, v42, 0xbf5db3d7, v17
	v_fmac_f32_e32 v17, 0x3f5db3d7, v42
	v_add_f32_e32 v27, v44, v43
	v_add_f32_e32 v21, v46, v47
	v_fma_f32 v42, v13, v61, -v35
	v_fma_f32 v43, v12, v63, -v57
	v_fmac_f32_e32 v58, v29, v61
	v_fmac_f32_e32 v59, v28, v63
	v_fma_f32 v14, -0.5, v54, v7
	v_fma_f32 v11, -0.5, v34, v26
	v_add_f32_e32 v26, v36, v16
	v_add_f32_e32 v16, v40, v48
	v_sub_f32_e32 v36, v40, v48
	v_add_f32_e32 v34, v25, v40
	v_add_f32_e32 v40, v9, v46
	global_store_dwordx2 v[1:2], v[30:31], off
	v_fma_f32 v30, -0.5, v21, v9
	v_add_f32_e32 v9, v58, v59
	v_add_f32_e32 v21, v42, v43
	v_fma_f32 v10, -0.5, v45, v10
	v_fmamk_f32 v13, v50, 0x3f5db3d7, v15
	v_fmamk_f32 v12, v55, 0xbf5db3d7, v14
	v_fmac_f32_e32 v15, 0xbf5db3d7, v50
	v_fmac_f32_e32 v14, 0x3f5db3d7, v55
	v_fma_f32 v31, -0.5, v16, v25
	v_add_f32_e32 v35, v34, v48
	v_add_f32_e32 v34, v40, v47
	;; [unrolled: 1-line block ×4, first 2 shown]
	v_sub_f32_e32 v7, v46, v47
	v_fmamk_f32 v29, v23, 0x3f5db3d7, v11
	v_fmac_f32_e32 v11, 0xbf5db3d7, v23
	v_sub_f32_e32 v16, v42, v43
	v_sub_f32_e32 v23, v58, v59
	v_fma_f32 v9, -0.5, v9, v22
	v_fma_f32 v8, -0.5, v21, v8
	v_fmamk_f32 v28, v41, 0xbf5db3d7, v10
	v_fmac_f32_e32 v10, 0x3f5db3d7, v41
	global_store_dwordx2 v[65:66], v[14:15], off offset:264
	global_store_dwordx2 v[3:4], v[12:13], off offset:528
	global_store_dwordx2 v[1:2], v[26:27], off offset:1224
	v_add_f32_e32 v15, v25, v59
	v_add_f32_e32 v14, v40, v43
	v_fmamk_f32 v13, v7, 0x3f5db3d7, v31
	v_fmamk_f32 v12, v36, 0xbf5db3d7, v30
	v_fmac_f32_e32 v31, 0xbf5db3d7, v7
	v_fmac_f32_e32 v30, 0x3f5db3d7, v36
	global_store_dwordx2 v[1:2], v[34:35], off offset:816
	global_store_dwordx2 v[65:66], v[10:11], off offset:1488
	v_fmamk_f32 v11, v16, 0x3f5db3d7, v9
	v_fmamk_f32 v10, v23, 0xbf5db3d7, v8
	v_fmac_f32_e32 v9, 0xbf5db3d7, v16
	v_fmac_f32_e32 v8, 0x3f5db3d7, v23
	global_store_dwordx2 v[3:4], v[28:29], off offset:1752
	global_store_dwordx2 v[1:2], v[14:15], off offset:408
	global_store_dwordx2 v[65:66], v[30:31], off offset:1080
	global_store_dwordx2 v[3:4], v[12:13], off offset:1344
	global_store_dwordx2 v[65:66], v[8:9], off offset:672
	global_store_dwordx2 v[3:4], v[10:11], off offset:936
	global_store_dwordx2 v[67:68], v[19:20], off offset:1632
	global_store_dwordx2 v[69:70], v[17:18], off offset:1896
	global_store_dwordx2 v[71:72], v[32:33], off offset:112
	s_and_b32 exec_lo, exec_lo, s0
	s_cbranch_execz .LBB0_18
; %bb.17:
	v_mov_b32_e32 v7, 0xff
	v_cndmask_b32_e64 v7, 0xffffffde, v7, s0
	v_add_lshl_u32 v23, v0, v7, 1
	v_lshlrev_b64 v[7:8], 3, v[23:24]
	v_add_co_u32 v0, vcc_lo, s8, v7
	v_add_co_ci_u32_e32 v8, vcc_lo, s9, v8, vcc_lo
	v_add_co_u32 v7, vcc_lo, 0x800, v0
	v_add_co_ci_u32_e32 v8, vcc_lo, 0, v8, vcc_lo
	global_load_dwordx4 v[7:10], v[7:8], off offset:128
	s_waitcnt vmcnt(0)
	v_mul_f32_e32 v0, v38, v8
	v_mul_f32_e32 v11, v52, v8
	;; [unrolled: 1-line block ×4, first 2 shown]
	v_fma_f32 v0, v52, v7, -v0
	v_fmac_f32_e32 v11, v38, v7
	v_fma_f32 v12, v37, v9, -v8
	v_fmac_f32_e32 v10, v39, v9
	v_add_co_u32 v7, vcc_lo, 0x1800, v1
	v_add_f32_e32 v13, v5, v0
	v_add_f32_e32 v9, v0, v12
	;; [unrolled: 1-line block ×3, first 2 shown]
	v_sub_f32_e32 v15, v11, v10
	v_add_f32_e32 v11, v6, v11
	v_sub_f32_e32 v0, v0, v12
	v_fmac_f32_e32 v5, -0.5, v9
	v_fmac_f32_e32 v6, -0.5, v14
	v_add_f32_e32 v9, v13, v12
	v_add_f32_e32 v10, v11, v10
	v_add_co_ci_u32_e32 v8, vcc_lo, 0, v2, vcc_lo
	v_fmamk_f32 v11, v15, 0x3f5db3d7, v5
	v_fmamk_f32 v12, v0, 0xbf5db3d7, v6
	v_fmac_f32_e32 v5, 0xbf5db3d7, v15
	v_fmac_f32_e32 v6, 0x3f5db3d7, v0
	global_store_dwordx2 v[1:2], v[9:10], off offset:2040
	global_store_dwordx2 v[3:4], v[11:12], off offset:256
	;; [unrolled: 1-line block ×3, first 2 shown]
.LBB0_18:
	s_endpgm
	.section	.rodata,"a",@progbits
	.p2align	6, 0x0
	.amdhsa_kernel fft_rtc_fwd_len867_factors_17_17_3_wgs_51_tpt_51_halfLds_sp_ip_CI_unitstride_sbrr_dirReg
		.amdhsa_group_segment_fixed_size 0
		.amdhsa_private_segment_fixed_size 0
		.amdhsa_kernarg_size 88
		.amdhsa_user_sgpr_count 6
		.amdhsa_user_sgpr_private_segment_buffer 1
		.amdhsa_user_sgpr_dispatch_ptr 0
		.amdhsa_user_sgpr_queue_ptr 0
		.amdhsa_user_sgpr_kernarg_segment_ptr 1
		.amdhsa_user_sgpr_dispatch_id 0
		.amdhsa_user_sgpr_flat_scratch_init 0
		.amdhsa_user_sgpr_private_segment_size 0
		.amdhsa_wavefront_size32 1
		.amdhsa_uses_dynamic_stack 0
		.amdhsa_system_sgpr_private_segment_wavefront_offset 0
		.amdhsa_system_sgpr_workgroup_id_x 1
		.amdhsa_system_sgpr_workgroup_id_y 0
		.amdhsa_system_sgpr_workgroup_id_z 0
		.amdhsa_system_sgpr_workgroup_info 0
		.amdhsa_system_vgpr_workitem_id 0
		.amdhsa_next_free_vgpr 80
		.amdhsa_next_free_sgpr 21
		.amdhsa_reserve_vcc 1
		.amdhsa_reserve_flat_scratch 0
		.amdhsa_float_round_mode_32 0
		.amdhsa_float_round_mode_16_64 0
		.amdhsa_float_denorm_mode_32 3
		.amdhsa_float_denorm_mode_16_64 3
		.amdhsa_dx10_clamp 1
		.amdhsa_ieee_mode 1
		.amdhsa_fp16_overflow 0
		.amdhsa_workgroup_processor_mode 1
		.amdhsa_memory_ordered 1
		.amdhsa_forward_progress 0
		.amdhsa_shared_vgpr_count 0
		.amdhsa_exception_fp_ieee_invalid_op 0
		.amdhsa_exception_fp_denorm_src 0
		.amdhsa_exception_fp_ieee_div_zero 0
		.amdhsa_exception_fp_ieee_overflow 0
		.amdhsa_exception_fp_ieee_underflow 0
		.amdhsa_exception_fp_ieee_inexact 0
		.amdhsa_exception_int_div_zero 0
	.end_amdhsa_kernel
	.text
.Lfunc_end0:
	.size	fft_rtc_fwd_len867_factors_17_17_3_wgs_51_tpt_51_halfLds_sp_ip_CI_unitstride_sbrr_dirReg, .Lfunc_end0-fft_rtc_fwd_len867_factors_17_17_3_wgs_51_tpt_51_halfLds_sp_ip_CI_unitstride_sbrr_dirReg
                                        ; -- End function
	.section	.AMDGPU.csdata,"",@progbits
; Kernel info:
; codeLenInByte = 13672
; NumSgprs: 23
; NumVgprs: 80
; ScratchSize: 0
; MemoryBound: 0
; FloatMode: 240
; IeeeMode: 1
; LDSByteSize: 0 bytes/workgroup (compile time only)
; SGPRBlocks: 2
; VGPRBlocks: 9
; NumSGPRsForWavesPerEU: 23
; NumVGPRsForWavesPerEU: 80
; Occupancy: 12
; WaveLimiterHint : 1
; COMPUTE_PGM_RSRC2:SCRATCH_EN: 0
; COMPUTE_PGM_RSRC2:USER_SGPR: 6
; COMPUTE_PGM_RSRC2:TRAP_HANDLER: 0
; COMPUTE_PGM_RSRC2:TGID_X_EN: 1
; COMPUTE_PGM_RSRC2:TGID_Y_EN: 0
; COMPUTE_PGM_RSRC2:TGID_Z_EN: 0
; COMPUTE_PGM_RSRC2:TIDIG_COMP_CNT: 0
	.text
	.p2alignl 6, 3214868480
	.fill 48, 4, 3214868480
	.type	__hip_cuid_c6ce67688233d867,@object ; @__hip_cuid_c6ce67688233d867
	.section	.bss,"aw",@nobits
	.globl	__hip_cuid_c6ce67688233d867
__hip_cuid_c6ce67688233d867:
	.byte	0                               ; 0x0
	.size	__hip_cuid_c6ce67688233d867, 1

	.ident	"AMD clang version 19.0.0git (https://github.com/RadeonOpenCompute/llvm-project roc-6.4.0 25133 c7fe45cf4b819c5991fe208aaa96edf142730f1d)"
	.section	".note.GNU-stack","",@progbits
	.addrsig
	.addrsig_sym __hip_cuid_c6ce67688233d867
	.amdgpu_metadata
---
amdhsa.kernels:
  - .args:
      - .actual_access:  read_only
        .address_space:  global
        .offset:         0
        .size:           8
        .value_kind:     global_buffer
      - .offset:         8
        .size:           8
        .value_kind:     by_value
      - .actual_access:  read_only
        .address_space:  global
        .offset:         16
        .size:           8
        .value_kind:     global_buffer
      - .actual_access:  read_only
        .address_space:  global
        .offset:         24
        .size:           8
        .value_kind:     global_buffer
      - .offset:         32
        .size:           8
        .value_kind:     by_value
      - .actual_access:  read_only
        .address_space:  global
        .offset:         40
        .size:           8
        .value_kind:     global_buffer
      - .actual_access:  read_only
        .address_space:  global
        .offset:         48
        .size:           8
        .value_kind:     global_buffer
      - .offset:         56
        .size:           4
        .value_kind:     by_value
      - .actual_access:  read_only
        .address_space:  global
        .offset:         64
        .size:           8
        .value_kind:     global_buffer
      - .actual_access:  read_only
        .address_space:  global
        .offset:         72
        .size:           8
        .value_kind:     global_buffer
      - .address_space:  global
        .offset:         80
        .size:           8
        .value_kind:     global_buffer
    .group_segment_fixed_size: 0
    .kernarg_segment_align: 8
    .kernarg_segment_size: 88
    .language:       OpenCL C
    .language_version:
      - 2
      - 0
    .max_flat_workgroup_size: 51
    .name:           fft_rtc_fwd_len867_factors_17_17_3_wgs_51_tpt_51_halfLds_sp_ip_CI_unitstride_sbrr_dirReg
    .private_segment_fixed_size: 0
    .sgpr_count:     23
    .sgpr_spill_count: 0
    .symbol:         fft_rtc_fwd_len867_factors_17_17_3_wgs_51_tpt_51_halfLds_sp_ip_CI_unitstride_sbrr_dirReg.kd
    .uniform_work_group_size: 1
    .uses_dynamic_stack: false
    .vgpr_count:     80
    .vgpr_spill_count: 0
    .wavefront_size: 32
    .workgroup_processor_mode: 1
amdhsa.target:   amdgcn-amd-amdhsa--gfx1030
amdhsa.version:
  - 1
  - 2
...

	.end_amdgpu_metadata
